;; amdgpu-corpus repo=triton-lang/triton kind=triton arch=gfx950 opt=O3 lang=triton
	.amdgcn_target "amdgcn-amd-amdhsa--gfx950"
	.amdhsa_code_object_version 5
	.text
	.globl	matmul_kernel                   ; -- Begin function matmul_kernel
	.p2align	8
	.type	matmul_kernel,@function
matmul_kernel:                          ; @matmul_kernel
.Lfunc_begin0:
	.cfi_sections .debug_frame
	.cfi_startproc
; %bb.228:
	.file	1 "/root/src/amdgpu-assembly/repos/triton-lang__triton-aot" "matmul.py"
	.loc	1 7 0 prologue_end              ; matmul.py:7:0
	s_load_dwordx2 s[2:3], s[0:1], 0x0
	s_load_dwordx8 s[4:11], s[0:1], 0x8
	s_load_dwordx4 s[12:15], s[0:1], 0x28
	s_waitcnt lgkmcnt(0)
	s_branch .LBB0_0
	.loc	1 0 0 is_stmt 0                 ; :0:0
.Ltmp0:
	.p2align	8
; %bb.229:
.LBB0_0:
.Ltmp1:
	.file	2 "/root/.local/lib/python3.13/site-packages/triton/language" "standard.py"
	.loc	2 43 17 is_stmt 1               ; standard.py:43:17 @[ matmul.py:14:27 ]
	s_add_i32 s17, s9, 63
	.loc	2 43 30 is_stmt 0               ; standard.py:43:30 @[ matmul.py:14:27 ]
	s_ashr_i32 s18, s17, 31
	s_lshr_b32 s18, s18, 26
	s_add_i32 s17, s17, s18
	s_ashr_i32 s17, s17, 6
.Ltmp2:
	.loc	1 15 38 is_stmt 1               ; matmul.py:15:38
	s_lshl_b32 s18, s17, 2
	.loc	1 16 22                         ; matmul.py:16:22
	s_abs_i32 s19, s18
	v_cvt_f32_u32_e32 v1, s19
.Ltmp3:
	.loc	2 43 17                         ; standard.py:43:17 @[ matmul.py:13:27 ]
	s_add_i32 s20, s8, 0x7f
.Ltmp4:
	.loc	1 16 22                         ; matmul.py:16:22
	s_sub_i32 s24, 0, s19
.Ltmp5:
	.loc	2 43 30                         ; standard.py:43:30 @[ matmul.py:13:27 ]
	s_ashr_i32 s21, s20, 31
.Ltmp6:
	.loc	1 16 22                         ; matmul.py:16:22
	v_rcp_iflag_f32_e32 v1, v1
.Ltmp7:
	.loc	2 43 30                         ; standard.py:43:30 @[ matmul.py:13:27 ]
	s_lshr_b32 s21, s21, 25
	s_add_i32 s20, s20, s21
.Ltmp8:
	.loc	1 16 22                         ; matmul.py:16:22
	s_abs_i32 s21, s16
	v_mul_f32_e32 v1, 0x4f7ffffe, v1
	v_cvt_u32_f32_e32 v1, v1
	.loc	1 31 20                         ; matmul.py:31:20
	v_readfirstlane_b32 s22, v0
	.loc	1 16 22                         ; matmul.py:16:22
	s_xor_b32 s17, s16, s17
	.loc	1 41 21                         ; matmul.py:41:21
	s_and_b32 s23, s22, 0xc0
	.loc	1 16 22                         ; matmul.py:16:22
	v_readfirstlane_b32 s25, v1
	s_mul_i32 s24, s24, s25
	s_mul_hi_u32 s24, s25, s24
	s_add_i32 s25, s25, s24
	s_mul_hi_u32 s24, s21, s25
	s_mul_i32 s25, s24, s19
	s_sub_i32 s21, s21, s25
.Ltmp9:
	.loc	2 43 30                         ; standard.py:43:30 @[ matmul.py:13:27 ]
	s_ashr_i32 s20, s20, 7
.Ltmp10:
	.loc	1 16 22                         ; matmul.py:16:22
	s_ashr_i32 s17, s17, 31
	s_add_i32 s25, s24, 1
	s_sub_i32 s26, s21, s19
	s_cmp_ge_u32 s21, s19
	s_cselect_b32 s24, s25, s24
	s_cselect_b32 s21, s26, s21
	s_add_i32 s25, s24, 1
	s_cmp_ge_u32 s21, s19
	s_cselect_b32 s19, s25, s24
	s_xor_b32 s19, s19, s17
	s_sub_i32 s17, s19, s17
	.loc	1 17 29                         ; matmul.py:17:29
	s_lshl_b32 s19, s17, 2
	.loc	1 18 35                         ; matmul.py:18:35
	s_sub_i32 s20, s20, s19
	.loc	1 18 48 is_stmt 0               ; matmul.py:18:48
	s_min_i32 s20, s20, 4
	.loc	1 20 40 is_stmt 1               ; matmul.py:20:40
	s_abs_i32 s21, s20
	v_cvt_f32_u32_e32 v1, s21
	s_sub_i32 s24, 0, s21
	.loc	1 19 34                         ; matmul.py:19:34
	s_mul_i32 s17, s17, s18
	s_sub_i32 s16, s16, s17
	.loc	1 20 40                         ; matmul.py:20:40
	v_rcp_iflag_f32_e32 v1, v1
	s_abs_i32 s18, s16
	s_xor_b32 s17, s16, s20
	s_ashr_i32 s17, s17, 31
	v_mul_f32_e32 v1, 0x4f7ffffe, v1
	v_cvt_u32_f32_e32 v1, v1
	.loc	1 22 51                         ; matmul.py:22:51
	v_and_b32_e32 v29, 63, v0
	v_or_b32_e32 v100, s23, v29
	v_and_b32_e32 v98, 31, v0
	.loc	1 20 40                         ; matmul.py:20:40
	v_mul_lo_u32 v2, s24, v1
	v_mul_hi_u32 v2, v1, v2
	v_add_u32_e32 v1, v1, v2
	v_mul_hi_u32 v1, s18, v1
	v_mul_lo_u32 v2, v1, s21
	v_sub_u32_e32 v2, s18, v2
	v_add_u32_e32 v3, 1, v1
	v_subrev_u32_e32 v4, s21, v2
	v_cmp_le_u32_e32 vcc, s21, v2
	.loc	1 22 68                         ; matmul.py:22:68
	s_abs_i32 s24, s8
	.loc	1 25 71                         ; matmul.py:25:71
	v_mul_lo_u32 v30, s12, v98
	.loc	1 20 40                         ; matmul.py:20:40
	v_cndmask_b32_e32 v1, v1, v3, vcc
	v_cndmask_b32_e32 v2, v2, v4, vcc
	v_add_u32_e32 v3, 1, v1
	v_cmp_le_u32_e32 vcc, s21, v2
	.loc	1 22 51                         ; matmul.py:22:51
	v_lshrrev_b32_e32 v4, 5, v100
.Ltmp11:
	.loc	2 43 17                         ; standard.py:43:17 @[ matmul.py:29:33 ]
	s_add_i32 s30, s10, 31
.Ltmp12:
	.loc	1 20 40                         ; matmul.py:20:40
	v_cndmask_b32_e32 v1, v1, v3, vcc
	.loc	1 22 68                         ; matmul.py:22:68
	v_cvt_f32_u32_e32 v3, s24
	.loc	1 20 40                         ; matmul.py:20:40
	v_xor_b32_e32 v1, s17, v1
	v_subrev_u32_e32 v28, s17, v1
	.loc	1 19 54                         ; matmul.py:19:54
	v_mul_lo_u32 v1, v28, s20
	.loc	1 22 68                         ; matmul.py:22:68
	v_rcp_iflag_f32_e32 v3, v3
	.loc	1 19 54                         ; matmul.py:19:54
	v_sub_u32_e32 v1, s16, v1
	.loc	1 19 27 is_stmt 0               ; matmul.py:19:27
	v_add_u32_e32 v2, s19, v1
	.loc	1 22 23 is_stmt 1               ; matmul.py:22:23
	v_lshlrev_b32_e32 v1, 7, v2
	.loc	1 22 68 is_stmt 0               ; matmul.py:22:68
	v_bfe_i32 v31, v2, 24, 1
	v_mul_f32_e32 v2, 0x4f7ffffe, v3
	v_cvt_u32_f32_e32 v2, v2
	.loc	1 22 38                         ; matmul.py:22:38
	v_or_b32_e32 v4, v1, v4
	.loc	1 22 68                         ; matmul.py:22:68
	s_sub_i32 s16, 0, s24
	v_add_u32_e32 v32, v4, v31
	v_mul_lo_u32 v4, s16, v2
	v_mul_hi_u32 v4, v2, v4
	v_xor_b32_e32 v3, v32, v31
	v_add_u32_e32 v58, v2, v4
	v_mul_hi_u32 v2, v3, v58
	v_mul_lo_u32 v2, v2, s24
	v_sub_u32_e32 v2, v3, v2
	v_subrev_u32_e32 v3, s24, v2
	v_cmp_le_u32_e32 vcc, s24, v2
	.loc	1 29 22 is_stmt 1               ; matmul.py:29:22
	s_cmp_gt_i32 s30, 31
	v_mov_b32_e32 v103, 0
	.loc	1 22 68                         ; matmul.py:22:68
	v_cndmask_b32_e32 v2, v2, v3, vcc
	v_subrev_u32_e32 v3, s24, v2
	v_cmp_le_u32_e32 vcc, s24, v2
	v_mov_b32_e32 v102, 0
	s_nop 0
	v_cndmask_b32_e32 v2, v2, v3, vcc
	v_add_u32_e32 v3, 8, v32
	v_xor_b32_e32 v12, v3, v31
	v_add_u32_e32 v3, 16, v32
	v_xor_b32_e32 v2, v2, v31
	v_xor_b32_e32 v14, v3, v31
	v_add_u32_e32 v3, 24, v32
	v_sub_u32_e32 v2, v2, v31
	v_xor_b32_e32 v16, v3, v31
	v_mad_u64_u32 v[4:5], s[16:17], v12, v58, 0
	v_mad_u64_u32 v[6:7], s[16:17], v14, v58, 0
	;; [unrolled: 1-line block ×3, first 2 shown]
	.loc	1 25 53                         ; matmul.py:25:53
	v_mad_u64_u32 v[34:35], s[16:17], v2, s11, v[30:31]
	.loc	1 22 68                         ; matmul.py:22:68
	v_add_u32_e32 v3, 32, v32
	.loc	1 25 22                         ; matmul.py:25:22
	v_ashrrev_i32_e32 v35, 31, v34
	.loc	1 29 22                         ; matmul.py:29:22
	s_cselect_b64 s[16:17], -1, 0
	.loc	1 30 51                         ; matmul.py:30:51
	v_cmp_gt_i32_e32 vcc, s10, v98
	.loc	1 22 68                         ; matmul.py:22:68
	v_xor_b32_e32 v18, v3, v31
	v_add_u32_e32 v4, 40, v32
	.loc	1 25 22                         ; matmul.py:25:22
	v_lshl_add_u64 v[2:3], v[34:35], 1, s[2:3]
	.loc	1 29 22                         ; matmul.py:29:22
	s_and_b64 s[18:19], vcc, s[16:17]
	.loc	1 30 20                         ; matmul.py:30:20
	s_and_saveexec_b64 s[20:21], s[18:19]
	s_cbranch_execz .LBB0_2
; %bb.1:
	global_load_ushort v102, v[2:3], off
.LBB0_2:
	.loc	1 0 20 is_stmt 0                ; matmul.py:0:20
	s_or_b64 exec, exec, s[20:21]
	v_xor_b32_e32 v20, v4, v31
	.loc	1 22 68 is_stmt 1               ; matmul.py:22:68
	v_mul_lo_u32 v4, v5, s24
	v_sub_u32_e32 v4, v12, v4
	v_subrev_u32_e32 v5, s24, v4
	v_cmp_le_u32_e32 vcc, s24, v4
	.loc	1 0 0 is_stmt 0                 ; matmul.py:0
	v_add_u32_e32 v6, 48, v32
	v_mad_u64_u32 v[10:11], s[20:21], v18, v58, 0
	.loc	1 22 68                         ; matmul.py:22:68
	v_cndmask_b32_e32 v4, v4, v5, vcc
	v_subrev_u32_e32 v5, s24, v4
	v_cmp_le_u32_e32 vcc, s24, v4
	s_nop 1
	v_cndmask_b32_e32 v4, v4, v5, vcc
	v_xor_b32_e32 v4, v4, v31
	v_sub_u32_e32 v4, v4, v31
	.loc	1 25 53 is_stmt 1               ; matmul.py:25:53
	v_mad_u64_u32 v[36:37], s[20:21], v4, s11, v[30:31]
	.loc	1 25 22 is_stmt 0               ; matmul.py:25:22
	v_ashrrev_i32_e32 v37, 31, v36
	v_lshl_add_u64 v[4:5], v[36:37], 1, s[2:3]
	.loc	1 30 20 is_stmt 1               ; matmul.py:30:20
	s_and_saveexec_b64 s[20:21], s[18:19]
	s_cbranch_execz .LBB0_4
; %bb.3:
	global_load_ushort v103, v[4:5], off
.LBB0_4:
	.loc	1 0 20 is_stmt 0                ; matmul.py:0:20
	s_or_b64 exec, exec, s[20:21]
	v_xor_b32_e32 v22, v6, v31
	.loc	1 22 68 is_stmt 1               ; matmul.py:22:68
	v_mul_lo_u32 v6, v7, s24
	v_sub_u32_e32 v6, v14, v6
	v_subrev_u32_e32 v7, s24, v6
	v_cmp_le_u32_e32 vcc, s24, v6
	.loc	1 0 0 is_stmt 0                 ; matmul.py:0
	v_add_u32_e32 v8, 56, v32
	v_mad_u64_u32 v[12:13], s[20:21], v20, v58, 0
	.loc	1 22 68                         ; matmul.py:22:68
	v_cndmask_b32_e32 v6, v6, v7, vcc
	v_subrev_u32_e32 v7, s24, v6
	v_cmp_le_u32_e32 vcc, s24, v6
	v_mov_b32_e32 v104, 0
	v_mov_b32_e32 v105, 0
	v_cndmask_b32_e32 v6, v6, v7, vcc
	v_xor_b32_e32 v6, v6, v31
	v_sub_u32_e32 v6, v6, v31
	.loc	1 25 53 is_stmt 1               ; matmul.py:25:53
	v_mad_u64_u32 v[38:39], s[20:21], v6, s11, v[30:31]
	.loc	1 25 22 is_stmt 0               ; matmul.py:25:22
	v_ashrrev_i32_e32 v39, 31, v38
	v_lshl_add_u64 v[6:7], v[38:39], 1, s[2:3]
	.loc	1 30 20 is_stmt 1               ; matmul.py:30:20
	s_and_saveexec_b64 s[20:21], s[18:19]
	s_cbranch_execz .LBB0_6
; %bb.5:
	global_load_ushort v105, v[6:7], off
.LBB0_6:
	.loc	1 0 20 is_stmt 0                ; matmul.py:0:20
	s_or_b64 exec, exec, s[20:21]
	v_xor_b32_e32 v24, v8, v31
	.loc	1 22 68 is_stmt 1               ; matmul.py:22:68
	v_mul_lo_u32 v8, v9, s24
	v_sub_u32_e32 v8, v16, v8
	v_subrev_u32_e32 v9, s24, v8
	v_cmp_le_u32_e32 vcc, s24, v8
	.loc	1 0 0 is_stmt 0                 ; matmul.py:0
	v_add_u32_e32 v10, 64, v32
	v_mad_u64_u32 v[14:15], s[20:21], v22, v58, 0
	.loc	1 22 68                         ; matmul.py:22:68
	v_cndmask_b32_e32 v8, v8, v9, vcc
	v_subrev_u32_e32 v9, s24, v8
	v_cmp_le_u32_e32 vcc, s24, v8
	s_nop 1
	v_cndmask_b32_e32 v8, v8, v9, vcc
	v_xor_b32_e32 v8, v8, v31
	v_sub_u32_e32 v8, v8, v31
	.loc	1 25 53 is_stmt 1               ; matmul.py:25:53
	v_mad_u64_u32 v[40:41], s[20:21], v8, s11, v[30:31]
	.loc	1 25 22 is_stmt 0               ; matmul.py:25:22
	v_ashrrev_i32_e32 v41, 31, v40
	v_lshl_add_u64 v[8:9], v[40:41], 1, s[2:3]
	.loc	1 30 20 is_stmt 1               ; matmul.py:30:20
	s_and_saveexec_b64 s[20:21], s[18:19]
	s_cbranch_execz .LBB0_8
; %bb.7:
	global_load_ushort v104, v[8:9], off
.LBB0_8:
	.loc	1 0 20 is_stmt 0                ; matmul.py:0:20
	s_or_b64 exec, exec, s[20:21]
	v_xor_b32_e32 v26, v10, v31
	.loc	1 22 68 is_stmt 1               ; matmul.py:22:68
	v_mul_lo_u32 v10, v11, s24
	v_sub_u32_e32 v10, v18, v10
	v_subrev_u32_e32 v11, s24, v10
	v_cmp_le_u32_e32 vcc, s24, v10
	.loc	1 0 0 is_stmt 0                 ; matmul.py:0
	v_add_u32_e32 v12, 0x48, v32
	v_mad_u64_u32 v[16:17], s[20:21], v24, v58, 0
	.loc	1 22 68                         ; matmul.py:22:68
	v_cndmask_b32_e32 v10, v10, v11, vcc
	v_subrev_u32_e32 v11, s24, v10
	v_cmp_le_u32_e32 vcc, s24, v10
	v_mov_b32_e32 v106, 0
	v_mov_b32_e32 v107, 0
	v_cndmask_b32_e32 v10, v10, v11, vcc
	v_xor_b32_e32 v10, v10, v31
	v_sub_u32_e32 v10, v10, v31
	.loc	1 25 53 is_stmt 1               ; matmul.py:25:53
	v_mad_u64_u32 v[42:43], s[20:21], v10, s11, v[30:31]
	.loc	1 25 22 is_stmt 0               ; matmul.py:25:22
	v_ashrrev_i32_e32 v43, 31, v42
	v_lshl_add_u64 v[10:11], v[42:43], 1, s[2:3]
	.loc	1 30 20 is_stmt 1               ; matmul.py:30:20
	s_and_saveexec_b64 s[20:21], s[18:19]
	s_cbranch_execz .LBB0_10
; %bb.9:
	global_load_ushort v107, v[10:11], off
.LBB0_10:
	.loc	1 0 20 is_stmt 0                ; matmul.py:0:20
	s_or_b64 exec, exec, s[20:21]
	v_xor_b32_e32 v52, v12, v31
	.loc	1 22 68 is_stmt 1               ; matmul.py:22:68
	v_mul_lo_u32 v12, v13, s24
	v_sub_u32_e32 v12, v20, v12
	v_subrev_u32_e32 v13, s24, v12
	v_cmp_le_u32_e32 vcc, s24, v12
	s_abs_i32 s25, s9
	.loc	1 0 0 is_stmt 0                 ; matmul.py:0
	v_add_u32_e32 v14, 0x50, v32
	.loc	1 22 68                         ; matmul.py:22:68
	v_cndmask_b32_e32 v12, v12, v13, vcc
	v_subrev_u32_e32 v13, s24, v12
	v_cmp_le_u32_e32 vcc, s24, v12
	.loc	1 0 0                           ; matmul.py:0
	v_mad_u64_u32 v[18:19], s[20:21], v26, v58, 0
	.loc	1 22 68                         ; matmul.py:22:68
	s_nop 0
	v_cndmask_b32_e32 v12, v12, v13, vcc
	v_xor_b32_e32 v12, v12, v31
	v_sub_u32_e32 v12, v12, v31
	.loc	1 25 53 is_stmt 1               ; matmul.py:25:53
	v_mad_u64_u32 v[44:45], s[20:21], v12, s11, v[30:31]
	.loc	1 25 22 is_stmt 0               ; matmul.py:25:22
	v_ashrrev_i32_e32 v45, 31, v44
	v_lshl_add_u64 v[12:13], v[44:45], 1, s[2:3]
	.loc	1 30 20 is_stmt 1               ; matmul.py:30:20
	s_and_saveexec_b64 s[20:21], s[18:19]
	s_cbranch_execz .LBB0_12
; %bb.11:
	global_load_ushort v106, v[12:13], off
.LBB0_12:
	.loc	1 0 20 is_stmt 0                ; matmul.py:0:20
	s_or_b64 exec, exec, s[20:21]
	v_xor_b32_e32 v33, v14, v31
	.loc	1 22 68 is_stmt 1               ; matmul.py:22:68
	v_mul_lo_u32 v14, v15, s24
	v_sub_u32_e32 v14, v22, v14
	v_subrev_u32_e32 v15, s24, v14
	v_cmp_le_u32_e32 vcc, s24, v14
	v_cvt_f32_u32_e32 v18, s25
	.loc	1 0 0 is_stmt 0                 ; matmul.py:0
	v_add_u32_e32 v16, 0x58, v32
	.loc	1 22 68                         ; matmul.py:22:68
	v_cndmask_b32_e32 v14, v14, v15, vcc
	v_subrev_u32_e32 v15, s24, v14
	v_cmp_le_u32_e32 vcc, s24, v14
	.loc	1 0 0                           ; matmul.py:0
	v_mad_u64_u32 v[20:21], s[20:21], v52, v58, 0
	.loc	1 22 68                         ; matmul.py:22:68
	s_nop 0
	v_cndmask_b32_e32 v14, v14, v15, vcc
	v_xor_b32_e32 v14, v14, v31
	v_sub_u32_e32 v14, v14, v31
	.loc	1 25 53 is_stmt 1               ; matmul.py:25:53
	v_mad_u64_u32 v[46:47], s[20:21], v14, s11, v[30:31]
	.loc	1 25 22 is_stmt 0               ; matmul.py:25:22
	v_ashrrev_i32_e32 v47, 31, v46
	v_lshl_add_u64 v[14:15], v[46:47], 1, s[2:3]
	v_mov_b32_e32 v108, 0
	v_mov_b32_e32 v109, 0
	.loc	1 30 20 is_stmt 1               ; matmul.py:30:20
	s_and_saveexec_b64 s[20:21], s[18:19]
	s_cbranch_execz .LBB0_14
; %bb.13:
	global_load_ushort v109, v[14:15], off
.LBB0_14:
	.loc	1 0 20 is_stmt 0                ; matmul.py:0:20
	s_or_b64 exec, exec, s[20:21]
	v_xor_b32_e32 v56, v16, v31
	.loc	1 22 68 is_stmt 1               ; matmul.py:22:68
	v_mul_lo_u32 v16, v17, s24
	v_sub_u32_e32 v16, v24, v16
	v_subrev_u32_e32 v17, s24, v16
	v_cmp_le_u32_e32 vcc, s24, v16
	v_rcp_iflag_f32_e32 v20, v18
	.loc	1 0 0 is_stmt 0                 ; matmul.py:0
	v_add_u32_e32 v18, 0x60, v32
	.loc	1 22 68                         ; matmul.py:22:68
	v_cndmask_b32_e32 v16, v16, v17, vcc
	v_subrev_u32_e32 v17, s24, v16
	v_cmp_le_u32_e32 vcc, s24, v16
	.loc	1 0 0                           ; matmul.py:0
	v_mad_u64_u32 v[22:23], s[20:21], v33, v58, 0
	.loc	1 22 68                         ; matmul.py:22:68
	s_nop 0
	v_cndmask_b32_e32 v16, v16, v17, vcc
	v_xor_b32_e32 v16, v16, v31
	v_sub_u32_e32 v16, v16, v31
	.loc	1 25 53 is_stmt 1               ; matmul.py:25:53
	v_mad_u64_u32 v[48:49], s[20:21], v16, s11, v[30:31]
	.loc	1 25 22 is_stmt 0               ; matmul.py:25:22
	v_ashrrev_i32_e32 v49, 31, v48
	v_lshl_add_u64 v[16:17], v[48:49], 1, s[2:3]
	.loc	1 30 20 is_stmt 1               ; matmul.py:30:20
	s_and_saveexec_b64 s[20:21], s[18:19]
	s_cbranch_execz .LBB0_16
; %bb.15:
	global_load_ushort v108, v[16:17], off
.LBB0_16:
	.loc	1 0 20 is_stmt 0                ; matmul.py:0:20
	s_or_b64 exec, exec, s[20:21]
	v_xor_b32_e32 v59, v18, v31
	.loc	1 22 68 is_stmt 1               ; matmul.py:22:68
	v_mul_lo_u32 v18, v19, s24
	v_sub_u32_e32 v18, v26, v18
	v_subrev_u32_e32 v19, s24, v18
	v_cmp_le_u32_e32 vcc, s24, v18
	v_mul_f32_e32 v22, 0x4f7ffffe, v20
	.loc	1 0 0 is_stmt 0                 ; matmul.py:0
	v_add_u32_e32 v20, 0x68, v32
	.loc	1 22 68                         ; matmul.py:22:68
	v_cndmask_b32_e32 v18, v18, v19, vcc
	v_subrev_u32_e32 v19, s24, v18
	v_cmp_le_u32_e32 vcc, s24, v18
	.loc	1 0 0                           ; matmul.py:0
	v_mad_u64_u32 v[24:25], s[20:21], v56, v58, 0
	.loc	1 22 68                         ; matmul.py:22:68
	s_nop 0
	v_cndmask_b32_e32 v18, v18, v19, vcc
	v_xor_b32_e32 v18, v18, v31
	v_sub_u32_e32 v18, v18, v31
	.loc	1 25 53 is_stmt 1               ; matmul.py:25:53
	v_mad_u64_u32 v[50:51], s[20:21], v18, s11, v[30:31]
	.loc	1 25 22 is_stmt 0               ; matmul.py:25:22
	v_ashrrev_i32_e32 v51, 31, v50
	v_lshl_add_u64 v[18:19], v[50:51], 1, s[2:3]
	v_mov_b32_e32 v110, 0
	v_mov_b32_e32 v111, 0
	.loc	1 30 20 is_stmt 1               ; matmul.py:30:20
	s_and_saveexec_b64 s[20:21], s[18:19]
	s_cbranch_execz .LBB0_18
; %bb.17:
	global_load_ushort v111, v[18:19], off
.LBB0_18:
	.loc	1 0 20 is_stmt 0                ; matmul.py:0:20
	s_or_b64 exec, exec, s[20:21]
	v_xor_b32_e32 v60, v20, v31
	.loc	1 22 68 is_stmt 1               ; matmul.py:22:68
	v_mul_lo_u32 v20, v21, s24
	v_sub_u32_e32 v20, v52, v20
	v_subrev_u32_e32 v21, s24, v20
	v_cmp_le_u32_e32 vcc, s24, v20
	v_cvt_u32_f32_e32 v61, v22
	v_lshlrev_b32_e32 v99, 6, v28
	v_cndmask_b32_e32 v20, v20, v21, vcc
	v_subrev_u32_e32 v21, s24, v20
	v_cmp_le_u32_e32 vcc, s24, v20
	s_sub_i32 s26, 0, s25
	.loc	1 0 0 is_stmt 0                 ; matmul.py:0
	v_add_u32_e32 v22, 0x70, v32
	.loc	1 22 68                         ; matmul.py:22:68
	v_cndmask_b32_e32 v20, v20, v21, vcc
	v_xor_b32_e32 v20, v20, v31
	v_sub_u32_e32 v20, v20, v31
	.loc	1 25 53 is_stmt 1               ; matmul.py:25:53
	v_mad_u64_u32 v[52:53], s[20:21], v20, s11, v[30:31]
	.loc	1 25 22 is_stmt 0               ; matmul.py:25:22
	v_ashrrev_i32_e32 v53, 31, v52
	.loc	1 0 0                           ; matmul.py:0
	v_mad_u64_u32 v[26:27], s[20:21], v59, v58, 0
	.loc	1 25 22                         ; matmul.py:25:22
	v_lshl_add_u64 v[20:21], v[52:53], 1, s[2:3]
	.loc	1 30 20 is_stmt 1               ; matmul.py:30:20
	s_and_saveexec_b64 s[20:21], s[18:19]
	s_cbranch_execz .LBB0_20
; %bb.19:
	global_load_ushort v110, v[20:21], off
.LBB0_20:
	.loc	1 0 20 is_stmt 0                ; matmul.py:0:20
	s_or_b64 exec, exec, s[20:21]
	v_xor_b32_e32 v62, v22, v31
	.loc	1 22 68 is_stmt 1               ; matmul.py:22:68
	v_mul_lo_u32 v22, v23, s24
	v_sub_u32_e32 v22, v33, v22
	v_subrev_u32_e32 v23, s24, v22
	v_cmp_le_u32_e32 vcc, s24, v22
	.loc	1 0 0 is_stmt 0                 ; matmul.py:0
	v_or_b32_e32 v24, v99, v29
	v_bfe_i32 v68, v28, 25, 1
	.loc	1 22 68                         ; matmul.py:22:68
	v_cndmask_b32_e32 v22, v22, v23, vcc
	v_subrev_u32_e32 v23, s24, v22
	v_cmp_le_u32_e32 vcc, s24, v22
	.loc	1 0 0                           ; matmul.py:0
	v_mul_lo_u32 v57, s26, v61
	v_add_u32_e32 v26, 0x78, v32
	.loc	1 22 68                         ; matmul.py:22:68
	v_cndmask_b32_e32 v22, v22, v23, vcc
	v_xor_b32_e32 v22, v22, v31
	v_sub_u32_e32 v22, v22, v31
	.loc	1 25 53 is_stmt 1               ; matmul.py:25:53
	v_mad_u64_u32 v[54:55], s[20:21], v22, s11, v[30:31]
	.loc	1 25 22 is_stmt 0               ; matmul.py:25:22
	v_ashrrev_i32_e32 v55, 31, v54
	.loc	1 0 0                           ; matmul.py:0
	v_mad_u64_u32 v[28:29], s[20:21], v60, v58, 0
	.loc	1 25 22                         ; matmul.py:25:22
	v_lshl_add_u64 v[22:23], v[54:55], 1, s[2:3]
	v_mov_b32_e32 v112, 0
	v_mov_b32_e32 v113, 0
	.loc	1 30 20 is_stmt 1               ; matmul.py:30:20
	s_and_saveexec_b64 s[20:21], s[18:19]
	s_cbranch_execz .LBB0_22
; %bb.21:
	global_load_ushort v113, v[22:23], off
.LBB0_22:
	.loc	1 0 20 is_stmt 0                ; matmul.py:0:20
	s_or_b64 exec, exec, s[20:21]
	v_add_u32_e32 v28, v24, v68
	.loc	1 22 68 is_stmt 1               ; matmul.py:22:68
	v_mul_lo_u32 v24, v25, s24
	v_sub_u32_e32 v24, v56, v24
	v_subrev_u32_e32 v25, s24, v24
	v_cmp_le_u32_e32 vcc, s24, v24
	.loc	1 0 0 is_stmt 0                 ; matmul.py:0
	v_mul_hi_u32 v63, v61, v57
	v_xor_b32_e32 v69, v26, v31
	.loc	1 22 68                         ; matmul.py:22:68
	v_cndmask_b32_e32 v24, v24, v25, vcc
	v_subrev_u32_e32 v25, s24, v24
	v_cmp_le_u32_e32 vcc, s24, v24
	.loc	1 0 0                           ; matmul.py:0
	v_mad_u64_u32 v[32:33], s[20:21], v62, v58, 0
	.loc	1 22 68                         ; matmul.py:22:68
	s_nop 0
	v_cndmask_b32_e32 v24, v24, v25, vcc
	v_xor_b32_e32 v24, v24, v31
	v_sub_u32_e32 v24, v24, v31
	.loc	1 25 53 is_stmt 1               ; matmul.py:25:53
	v_mad_u64_u32 v[56:57], s[20:21], v24, s11, v[30:31]
	.loc	1 25 22 is_stmt 0               ; matmul.py:25:22
	v_ashrrev_i32_e32 v57, 31, v56
	v_lshl_add_u64 v[24:25], v[56:57], 1, s[2:3]
	.loc	1 30 20 is_stmt 1               ; matmul.py:30:20
	s_and_saveexec_b64 s[20:21], s[18:19]
	s_cbranch_execz .LBB0_24
; %bb.23:
	global_load_ushort v112, v[24:25], off
.LBB0_24:
	.loc	1 0 20 is_stmt 0                ; matmul.py:0:20
	s_or_b64 exec, exec, s[20:21]
	.loc	1 22 68 is_stmt 1               ; matmul.py:22:68
	v_mul_lo_u32 v26, v27, s24
	v_sub_u32_e32 v26, v59, v26
	v_subrev_u32_e32 v27, s24, v26
	v_cmp_le_u32_e32 vcc, s24, v26
	.loc	1 0 0 is_stmt 0                 ; matmul.py:0
	v_mad_u64_u32 v[64:65], s[20:21], v69, v58, 0
	.loc	1 22 68                         ; matmul.py:22:68
	s_nop 0
	v_cndmask_b32_e32 v26, v26, v27, vcc
	v_subrev_u32_e32 v27, s24, v26
	v_cmp_le_u32_e32 vcc, s24, v26
	.loc	1 0 0                           ; matmul.py:0
	v_xor_b32_e32 v70, v28, v68
	v_add_u32_e32 v28, v61, v63
	.loc	1 22 68                         ; matmul.py:22:68
	v_cndmask_b32_e32 v26, v26, v27, vcc
	v_xor_b32_e32 v26, v26, v31
	v_sub_u32_e32 v26, v26, v31
	.loc	1 25 53 is_stmt 1               ; matmul.py:25:53
	v_mad_u64_u32 v[58:59], s[20:21], v26, s11, v[30:31]
	.loc	1 25 22 is_stmt 0               ; matmul.py:25:22
	v_ashrrev_i32_e32 v59, 31, v58
	v_lshl_add_u64 v[26:27], v[58:59], 1, s[2:3]
	v_mov_b32_e32 v114, 0
	v_mov_b32_e32 v115, 0
	.loc	1 30 20 is_stmt 1               ; matmul.py:30:20
	s_and_saveexec_b64 s[20:21], s[18:19]
	s_cbranch_execz .LBB0_26
; %bb.25:
	global_load_ushort v115, v[26:27], off
.LBB0_26:
	.loc	1 0 20 is_stmt 0                ; matmul.py:0:20
	s_or_b64 exec, exec, s[20:21]
	v_mad_u64_u32 v[66:67], s[20:21], v70, v28, 0
	.loc	1 22 68 is_stmt 1               ; matmul.py:22:68
	v_mul_lo_u32 v28, v29, s24
	v_sub_u32_e32 v28, v60, v28
	v_subrev_u32_e32 v29, s24, v28
	v_cmp_le_u32_e32 vcc, s24, v28
	s_nop 1
	v_cndmask_b32_e32 v28, v28, v29, vcc
	v_subrev_u32_e32 v29, s24, v28
	v_cmp_le_u32_e32 vcc, s24, v28
	s_nop 1
	v_cndmask_b32_e32 v28, v28, v29, vcc
	v_xor_b32_e32 v28, v28, v31
	v_sub_u32_e32 v28, v28, v31
	.loc	1 25 53                         ; matmul.py:25:53
	v_mad_u64_u32 v[60:61], s[20:21], v28, s11, v[30:31]
	.loc	1 25 22 is_stmt 0               ; matmul.py:25:22
	v_ashrrev_i32_e32 v61, 31, v60
	v_lshl_add_u64 v[28:29], v[60:61], 1, s[2:3]
	.loc	1 30 20 is_stmt 1               ; matmul.py:30:20
	s_and_saveexec_b64 s[20:21], s[18:19]
	s_cbranch_execz .LBB0_28
; %bb.27:
	global_load_ushort v114, v[28:29], off
.LBB0_28:
	.loc	1 0 20 is_stmt 0                ; matmul.py:0:20
	s_or_b64 exec, exec, s[20:21]
	.loc	1 22 68 is_stmt 1               ; matmul.py:22:68
	v_mul_lo_u32 v32, v33, s24
	v_sub_u32_e32 v32, v62, v32
	v_subrev_u32_e32 v33, s24, v32
	v_cmp_le_u32_e32 vcc, s24, v32
	v_mov_b32_e32 v116, 0
	v_mov_b32_e32 v117, 0
	v_cndmask_b32_e32 v32, v32, v33, vcc
	v_subrev_u32_e32 v33, s24, v32
	v_cmp_le_u32_e32 vcc, s24, v32
	s_nop 1
	v_cndmask_b32_e32 v32, v32, v33, vcc
	v_xor_b32_e32 v32, v32, v31
	v_sub_u32_e32 v32, v32, v31
	.loc	1 25 53                         ; matmul.py:25:53
	v_mad_u64_u32 v[62:63], s[20:21], v32, s11, v[30:31]
	.loc	1 25 22 is_stmt 0               ; matmul.py:25:22
	v_ashrrev_i32_e32 v63, 31, v62
	v_lshl_add_u64 v[32:33], v[62:63], 1, s[2:3]
	.loc	1 30 20 is_stmt 1               ; matmul.py:30:20
	s_and_saveexec_b64 s[20:21], s[18:19]
	s_cbranch_execz .LBB0_30
; %bb.29:
	global_load_ushort v117, v[32:33], off
.LBB0_30:
	.loc	1 0 20 is_stmt 0                ; matmul.py:0:20
	s_or_b64 exec, exec, s[20:21]
	.loc	1 22 68 is_stmt 1               ; matmul.py:22:68
	v_mul_lo_u32 v64, v65, s24
	v_sub_u32_e32 v64, v69, v64
	v_subrev_u32_e32 v65, s24, v64
	v_cmp_le_u32_e32 vcc, s24, v64
	s_nop 1
	v_cndmask_b32_e32 v64, v64, v65, vcc
	v_subrev_u32_e32 v65, s24, v64
	v_cmp_le_u32_e32 vcc, s24, v64
	s_nop 1
	v_cndmask_b32_e32 v64, v64, v65, vcc
	v_xor_b32_e32 v64, v64, v31
	v_sub_u32_e32 v31, v64, v31
	.loc	1 25 53                         ; matmul.py:25:53
	v_mad_u64_u32 v[64:65], s[20:21], v31, s11, v[30:31]
	.loc	1 25 22 is_stmt 0               ; matmul.py:25:22
	v_ashrrev_i32_e32 v65, 31, v64
	v_lshl_add_u64 v[30:31], v[64:65], 1, s[2:3]
	.loc	1 30 20 is_stmt 1               ; matmul.py:30:20
	s_and_saveexec_b64 s[20:21], s[18:19]
	s_cbranch_execz .LBB0_32
; %bb.31:
	global_load_ushort v116, v[30:31], off
.LBB0_32:
	.loc	1 0 20 is_stmt 0                ; matmul.py:0:20
	s_or_b64 exec, exec, s[20:21]
	.loc	1 23 68 is_stmt 1               ; matmul.py:23:68
	v_mul_lo_u32 v66, v67, s25
	v_sub_u32_e32 v66, v70, v66
	v_subrev_u32_e32 v67, s25, v66
	v_cmp_le_u32_e32 vcc, s25, v66
	.loc	1 26 29                         ; matmul.py:26:29
	s_lshr_b32 s23, s23, 6
	.loc	1 26 40 is_stmt 0               ; matmul.py:26:40
	s_mul_i32 s11, s23, s13
	.loc	1 23 68 is_stmt 1               ; matmul.py:23:68
	v_cndmask_b32_e32 v66, v66, v67, vcc
	v_subrev_u32_e32 v67, s25, v66
	v_cmp_le_u32_e32 vcc, s25, v66
	.loc	1 31 51                         ; matmul.py:31:51
	s_cmp_ge_i32 s23, s10
	s_cselect_b64 s[20:21], -1, 0
	.loc	1 23 68                         ; matmul.py:23:68
	v_cndmask_b32_e32 v66, v66, v67, vcc
	v_xor_b32_e32 v66, v66, v68
	v_sub_u32_e32 v66, v66, v68
	.loc	1 26 71                         ; matmul.py:26:71
	v_mul_lo_u32 v66, v66, s14
	.loc	1 26 52 is_stmt 0               ; matmul.py:26:52
	v_add_u32_e32 v66, s11, v66
	.loc	1 29 22 is_stmt 1               ; matmul.py:29:22
	s_xor_b64 s[18:19], s[16:17], -1
	.loc	1 26 22                         ; matmul.py:26:22
	v_ashrrev_i32_e32 v67, 31, v66
	.loc	1 31 20                         ; matmul.py:31:20
	s_or_b64 s[20:21], s[18:19], s[20:21]
	.loc	1 26 22                         ; matmul.py:26:22
	v_lshl_add_u64 v[82:83], v[66:67], 1, s[4:5]
	.loc	1 31 20                         ; matmul.py:31:20
	s_and_b64 vcc, exec, s[20:21]
	s_cbranch_vccnz .LBB0_34
; %bb.33:
	global_load_ushort v118, v[82:83], off
	s_branch .LBB0_35
.LBB0_34:
	.loc	1 0 20 is_stmt 0                ; matmul.py:0:20
	v_mov_b32_e32 v118, 0
.LBB0_35:
	.loc	1 26 29 is_stmt 1               ; matmul.py:26:29
	s_or_b32 s24, s23, 4
	.loc	1 31 51                         ; matmul.py:31:51
	s_cmp_ge_i32 s24, s10
	.loc	1 26 52                         ; matmul.py:26:52
	v_lshl_add_u32 v68, s13, 2, v66
	.loc	1 31 51                         ; matmul.py:31:51
	s_cselect_b64 s[20:21], -1, 0
	.loc	1 26 22                         ; matmul.py:26:22
	v_ashrrev_i32_e32 v69, 31, v68
	.loc	1 31 20                         ; matmul.py:31:20
	s_or_b64 s[20:21], s[18:19], s[20:21]
	.loc	1 26 22                         ; matmul.py:26:22
	v_lshl_add_u64 v[84:85], v[68:69], 1, s[4:5]
	.loc	1 31 20                         ; matmul.py:31:20
	s_and_b64 vcc, exec, s[20:21]
	s_cbranch_vccnz .LBB0_37
; %bb.36:
	global_load_ushort v119, v[84:85], off
	s_branch .LBB0_38
.LBB0_37:
	.loc	1 0 20 is_stmt 0                ; matmul.py:0:20
	v_mov_b32_e32 v119, 0
.LBB0_38:
	.loc	1 26 29 is_stmt 1               ; matmul.py:26:29
	s_or_b32 s25, s23, 8
	.loc	1 31 51                         ; matmul.py:31:51
	s_cmp_ge_i32 s25, s10
	.loc	1 26 52                         ; matmul.py:26:52
	v_lshl_add_u32 v70, s13, 3, v66
	.loc	1 31 51                         ; matmul.py:31:51
	s_cselect_b64 s[20:21], -1, 0
	.loc	1 26 22                         ; matmul.py:26:22
	v_ashrrev_i32_e32 v71, 31, v70
	.loc	1 31 20                         ; matmul.py:31:20
	s_or_b64 s[20:21], s[18:19], s[20:21]
	.loc	1 26 22                         ; matmul.py:26:22
	v_lshl_add_u64 v[86:87], v[70:71], 1, s[4:5]
	.loc	1 31 20                         ; matmul.py:31:20
	s_and_b64 vcc, exec, s[20:21]
	s_cbranch_vccnz .LBB0_40
; %bb.39:
	global_load_ushort v120, v[86:87], off
	s_branch .LBB0_41
.LBB0_40:
	.loc	1 0 20 is_stmt 0                ; matmul.py:0:20
	v_mov_b32_e32 v120, 0
.LBB0_41:
	.loc	1 26 29 is_stmt 1               ; matmul.py:26:29
	s_or_b32 s26, s23, 12
	.loc	1 26 52 is_stmt 0               ; matmul.py:26:52
	v_mad_u64_u32 v[72:73], s[20:21], s13, 12, v[66:67]
	.loc	1 31 51 is_stmt 1               ; matmul.py:31:51
	s_cmp_ge_i32 s26, s10
	s_cselect_b64 s[20:21], -1, 0
	.loc	1 26 22                         ; matmul.py:26:22
	v_ashrrev_i32_e32 v73, 31, v72
	.loc	1 31 20                         ; matmul.py:31:20
	s_or_b64 s[20:21], s[18:19], s[20:21]
	.loc	1 26 22                         ; matmul.py:26:22
	v_lshl_add_u64 v[88:89], v[72:73], 1, s[4:5]
	.loc	1 31 20                         ; matmul.py:31:20
	s_and_b64 vcc, exec, s[20:21]
	s_cbranch_vccnz .LBB0_43
; %bb.42:
	global_load_ushort v121, v[88:89], off
	s_branch .LBB0_44
.LBB0_43:
	.loc	1 0 20 is_stmt 0                ; matmul.py:0:20
	v_mov_b32_e32 v121, 0
.LBB0_44:
	.loc	1 26 29 is_stmt 1               ; matmul.py:26:29
	s_or_b32 s27, s23, 16
	.loc	1 31 51                         ; matmul.py:31:51
	s_cmp_ge_i32 s27, s10
	.loc	1 26 52                         ; matmul.py:26:52
	v_lshl_add_u32 v74, s13, 4, v66
	.loc	1 31 51                         ; matmul.py:31:51
	s_cselect_b64 s[20:21], -1, 0
	.loc	1 26 22                         ; matmul.py:26:22
	v_ashrrev_i32_e32 v75, 31, v74
	.loc	1 31 20                         ; matmul.py:31:20
	s_or_b64 s[20:21], s[18:19], s[20:21]
	.loc	1 26 22                         ; matmul.py:26:22
	v_lshl_add_u64 v[90:91], v[74:75], 1, s[4:5]
	.loc	1 31 20                         ; matmul.py:31:20
	s_and_b64 vcc, exec, s[20:21]
	s_cbranch_vccnz .LBB0_46
; %bb.45:
	global_load_ushort v122, v[90:91], off
	s_branch .LBB0_47
.LBB0_46:
	.loc	1 0 20 is_stmt 0                ; matmul.py:0:20
	v_mov_b32_e32 v122, 0
.LBB0_47:
	.loc	1 26 29 is_stmt 1               ; matmul.py:26:29
	s_or_b32 s28, s23, 20
	.loc	1 26 52 is_stmt 0               ; matmul.py:26:52
	v_mad_u64_u32 v[78:79], s[20:21], s13, 20, v[66:67]
	.loc	1 31 51 is_stmt 1               ; matmul.py:31:51
	s_cmp_ge_i32 s28, s10
	s_cselect_b64 s[20:21], -1, 0
	.loc	1 26 22                         ; matmul.py:26:22
	v_ashrrev_i32_e32 v79, 31, v78
	.loc	1 31 20                         ; matmul.py:31:20
	s_or_b64 s[20:21], s[18:19], s[20:21]
	.loc	1 26 22                         ; matmul.py:26:22
	v_lshl_add_u64 v[92:93], v[78:79], 1, s[4:5]
	.loc	1 31 20                         ; matmul.py:31:20
	s_and_b64 vcc, exec, s[20:21]
	s_cbranch_vccnz .LBB0_49
; %bb.48:
	global_load_ushort v123, v[92:93], off
	s_branch .LBB0_50
.LBB0_49:
	.loc	1 0 20 is_stmt 0                ; matmul.py:0:20
	v_mov_b32_e32 v123, 0
.LBB0_50:
	.loc	1 26 29 is_stmt 1               ; matmul.py:26:29
	s_or_b32 s29, s23, 24
	.loc	1 26 52 is_stmt 0               ; matmul.py:26:52
	v_mad_u64_u32 v[80:81], s[20:21], s13, 24, v[66:67]
	.loc	1 31 51 is_stmt 1               ; matmul.py:31:51
	s_cmp_ge_i32 s29, s10
	s_cselect_b64 s[20:21], -1, 0
	.loc	1 26 22                         ; matmul.py:26:22
	v_ashrrev_i32_e32 v81, 31, v80
	.loc	1 31 20                         ; matmul.py:31:20
	s_or_b64 s[20:21], s[18:19], s[20:21]
	.loc	1 26 22                         ; matmul.py:26:22
	v_lshl_add_u64 v[94:95], v[80:81], 1, s[4:5]
	.loc	1 31 20                         ; matmul.py:31:20
	s_and_b64 vcc, exec, s[20:21]
	s_cbranch_vccnz .LBB0_52
; %bb.51:
	global_load_ushort v124, v[94:95], off
	s_branch .LBB0_53
.LBB0_52:
	.loc	1 0 20 is_stmt 0                ; matmul.py:0:20
	v_mov_b32_e32 v124, 0
.LBB0_53:
	.loc	1 26 29 is_stmt 1               ; matmul.py:26:29
	s_or_b32 s31, s23, 28
	.loc	1 26 52 is_stmt 0               ; matmul.py:26:52
	v_mad_u64_u32 v[76:77], s[20:21], s13, 28, v[66:67]
	.loc	1 31 51 is_stmt 1               ; matmul.py:31:51
	s_cmp_ge_i32 s31, s10
	s_cselect_b64 s[20:21], -1, 0
	.loc	1 26 22                         ; matmul.py:26:22
	v_ashrrev_i32_e32 v77, 31, v76
	.loc	1 31 20                         ; matmul.py:31:20
	s_or_b64 s[18:19], s[18:19], s[20:21]
	.loc	1 26 22                         ; matmul.py:26:22
	v_lshl_add_u64 v[96:97], v[76:77], 1, s[4:5]
	.loc	1 31 20                         ; matmul.py:31:20
	s_and_b64 vcc, exec, s[18:19]
	s_cbranch_vccnz .LBB0_55
; %bb.54:
	global_load_ushort v125, v[96:97], off
	s_branch .LBB0_56
.LBB0_55:
	.loc	1 0 20 is_stmt 0                ; matmul.py:0:20
	v_mov_b32_e32 v125, 0
.LBB0_56:
	.loc	1 22 51 is_stmt 1               ; matmul.py:22:51
	s_bfe_i32 s11, s22, 0x10007
	.loc	1 30 20                         ; matmul.py:30:20
	v_lshlrev_b32_e32 v100, 1, v100
	s_and_b32 s11, s11, 0x110
	v_mov_b32_e32 v101, 0xfe
	v_bitop3_b32 v100, v100, s11, v101 bitop3:0x6c
	v_add_u32_e32 v101, 0, v100
	s_waitcnt vmcnt(0)
	ds_write_b16 v101, v102
	ds_write_b16 v101, v105 offset:1024
	ds_write_b16 v101, v107 offset:2048
	;; [unrolled: 1-line block ×7, first 2 shown]
	v_xor_b32_e32 v102, 32, v100
	v_add_u32_e32 v102, 0, v102
	.loc	1 23 51                         ; matmul.py:23:51
	s_and_b32 s14, s22, 64
	.loc	1 30 20                         ; matmul.py:30:20
	ds_write_b16 v102, v103 offset:512
	ds_write_b16 v102, v104 offset:1536
	;; [unrolled: 1-line block ×8, first 2 shown]
	.loc	1 31 20                         ; matmul.py:31:20
	ds_write_b16 v101, v118 offset:8192
	ds_write_b16 v101, v122 offset:10240
	;; [unrolled: 1-line block ×4, first 2 shown]
	v_xor_b32_e32 v103, 64, v100
	v_xor_b32_e32 v100, 0x60, v100
	v_add_u32_e32 v103, 0, v103
	v_add_u32_e32 v104, 0, v100
	.loc	1 29 22                         ; matmul.py:29:22
	s_cmp_gt_i32 s30, 63
	v_lshlrev_b32_e32 v109, 5, v0
	v_lshlrev_b32_e32 v110, 3, v0
	;; [unrolled: 1-line block ×3, first 2 shown]
	.loc	1 31 20                         ; matmul.py:31:20
	ds_write_b16 v103, v120 offset:9216
	ds_write_b16 v103, v124 offset:11264
	;; [unrolled: 1-line block ×4, first 2 shown]
	.loc	1 29 22                         ; matmul.py:29:22
	s_cbranch_scc1 .LBB0_59
; %bb.57:                               ; %.._crit_edge_crit_edge
	.loc	1 31 20                         ; matmul.py:31:20
	v_and_b32_e32 v100, 0x580, v109
	v_and_b32_e32 v105, 24, v110
	;; [unrolled: 1-line block ×3, first 2 shown]
	v_bitop3_b32 v100, v100, v106, v105 bitop3:0x36
	v_xor_b32_e32 v105, s14, v100
	v_xor_b32_e32 v106, 0x220, v105
	s_and_b32 s22, s22, 0x80
	v_and_b32_e32 v100, 32, v0
	s_cbranch_execz .LBB0_60
; %bb.58:
	.loc	1 0 20 is_stmt 0                ; matmul.py:0:20
	v_mov_b32_e32 v33, 0
	v_mov_b32_e32 v32, v33
	;; [unrolled: 1-line block ×32, first 2 shown]
	s_branch .LBB0_161
.LBB0_59:
                                        ; implicit-def: $vgpr105
                                        ; implicit-def: $vgpr106
	s_and_b32 s22, s22, 0x80
	v_and_b32_e32 v100, 32, v0
.LBB0_60:                               ; %.lr.ph
	.loc	1 33 33 is_stmt 1               ; matmul.py:33:33
	s_lshl_b32 s18, s12, 5
	.loc	1 30 55                         ; matmul.py:30:55
	s_sub_i32 s11, s10, 32
	s_ashr_i32 s19, s18, 31
	.loc	1 30 51 is_stmt 0               ; matmul.py:30:51
	v_cmp_gt_u32_e32 vcc, s11, v98
	v_mov_b32_e32 v120, 0
	v_mov_b32_e32 v121, 0
	.loc	1 30 20                         ; matmul.py:30:20
	s_and_saveexec_b64 s[20:21], vcc
	s_cbranch_execz .LBB0_62
; %bb.61:
	.loc	1 33 18 is_stmt 1               ; matmul.py:33:18
	v_lshl_add_u64 v[2:3], s[18:19], 1, v[2:3]
	.loc	1 30 20                         ; matmul.py:30:20
	global_load_ushort v121, v[2:3], off
.LBB0_62:
	.loc	1 0 20 is_stmt 0                ; matmul.py:0:20
	s_or_b64 exec, exec, s[20:21]
	.loc	1 30 20                         ; matmul.py:30:20
	s_and_saveexec_b64 s[20:21], vcc
	s_cbranch_execz .LBB0_64
; %bb.63:
	.loc	1 33 18 is_stmt 1               ; matmul.py:33:18
	v_lshl_add_u64 v[2:3], s[18:19], 1, v[4:5]
	.loc	1 30 20                         ; matmul.py:30:20
	global_load_ushort v120, v[2:3], off
.LBB0_64:
	.loc	1 0 20 is_stmt 0                ; matmul.py:0:20
	s_or_b64 exec, exec, s[20:21]
	v_mov_b32_e32 v122, 0
	v_mov_b32_e32 v123, 0
	.loc	1 30 20                         ; matmul.py:30:20
	s_and_saveexec_b64 s[20:21], vcc
	s_cbranch_execz .LBB0_66
; %bb.65:
	.loc	1 33 18 is_stmt 1               ; matmul.py:33:18
	v_lshl_add_u64 v[2:3], s[18:19], 1, v[6:7]
	.loc	1 30 20                         ; matmul.py:30:20
	global_load_ushort v123, v[2:3], off
.LBB0_66:
	.loc	1 0 20 is_stmt 0                ; matmul.py:0:20
	s_or_b64 exec, exec, s[20:21]
	.loc	1 30 20                         ; matmul.py:30:20
	s_and_saveexec_b64 s[20:21], vcc
	s_cbranch_execz .LBB0_68
; %bb.67:
	.loc	1 33 18 is_stmt 1               ; matmul.py:33:18
	v_lshl_add_u64 v[2:3], s[18:19], 1, v[8:9]
	.loc	1 30 20                         ; matmul.py:30:20
	global_load_ushort v122, v[2:3], off
.LBB0_68:
	.loc	1 0 20 is_stmt 0                ; matmul.py:0:20
	s_or_b64 exec, exec, s[20:21]
	;; [unrolled: 24-line block ×8, first 2 shown]
	v_lshlrev_b32_e32 v3, 2, v0
	v_lshlrev_b32_e32 v2, 6, v98
	v_and_b32_e32 v3, 48, v3
	v_lshrrev_b32_e32 v4, 1, v100
	s_lshl_b32 s12, s22, 4
	v_or_b32_e32 v5, v2, v3
	v_bitop3_b32 v2, v2, v4, v3 bitop3:0x36
	v_bitop3_b32 v3, s12, v5, v4 bitop3:0xf6
	;; [unrolled: 1-line block ×3, first 2 shown]
	.loc	1 30 20                         ; matmul.py:30:20
	v_add_u32_e32 v107, 0, v3
	v_add_u32_e32 v108, 0, v2
	s_waitcnt lgkmcnt(0)
	s_barrier
	ds_read_b128 v[18:21], v107
	ds_read_b128 v[116:119], v107 offset:4096
	ds_read_b128 v[22:25], v108
	ds_read_b128 v[112:115], v108 offset:4096
	.loc	1 34 33 is_stmt 1               ; matmul.py:34:33
	s_lshl_b32 s12, s13, 5
	s_ashr_i32 s13, s12, 31
	.loc	1 31 51                         ; matmul.py:31:51
	s_cmp_ge_u32 s23, s11
	.loc	1 31 20 is_stmt 0               ; matmul.py:31:20
	s_cbranch_scc1 .LBB0_101
; %bb.93:
	.loc	1 34 18 is_stmt 1               ; matmul.py:34:18
	v_lshl_add_u64 v[2:3], s[12:13], 1, v[82:83]
	.loc	1 31 20                         ; matmul.py:31:20
	global_load_ushort v136, v[2:3], off
	.loc	1 31 51 is_stmt 0               ; matmul.py:31:51
	s_cmp_ge_u32 s24, s11
	.loc	1 31 20                         ; matmul.py:31:20
	s_cbranch_scc0 .LBB0_102
.LBB0_94:
	.loc	1 0 20                          ; matmul.py:0:20
	v_mov_b32_e32 v84, 0
	.loc	1 31 51                         ; matmul.py:31:51
	s_cmp_ge_u32 s25, s11
	.loc	1 31 20                         ; matmul.py:31:20
	s_cbranch_scc0 .LBB0_103
.LBB0_95:
	.loc	1 0 20                          ; matmul.py:0:20
	v_mov_b32_e32 v85, 0
	.loc	1 31 51                         ; matmul.py:31:51
	s_cmp_ge_u32 s26, s11
	.loc	1 31 20                         ; matmul.py:31:20
	s_cbranch_scc0 .LBB0_104
.LBB0_96:
	.loc	1 0 20                          ; matmul.py:0:20
	v_mov_b32_e32 v86, 0
	.loc	1 31 51                         ; matmul.py:31:51
	s_cmp_ge_u32 s27, s11
	.loc	1 31 20                         ; matmul.py:31:20
	s_cbranch_scc0 .LBB0_105
.LBB0_97:
	.loc	1 0 20                          ; matmul.py:0:20
	v_mov_b32_e32 v87, 0
	.loc	1 31 51                         ; matmul.py:31:51
	s_cmp_ge_u32 s28, s11
	.loc	1 31 20                         ; matmul.py:31:20
	s_cbranch_scc0 .LBB0_106
.LBB0_98:
	.loc	1 0 20                          ; matmul.py:0:20
	v_mov_b32_e32 v88, 0
	.loc	1 31 51                         ; matmul.py:31:51
	s_cmp_ge_u32 s29, s11
	.loc	1 31 20                         ; matmul.py:31:20
	s_cbranch_scc0 .LBB0_107
.LBB0_99:
	.loc	1 0 20                          ; matmul.py:0:20
	v_mov_b32_e32 v89, 0
	.loc	1 31 51                         ; matmul.py:31:51
	s_cmp_ge_u32 s31, s11
	.loc	1 31 20                         ; matmul.py:31:20
	s_cbranch_scc0 .LBB0_108
.LBB0_100:
	.loc	1 0 20                          ; matmul.py:0:20
	v_mov_b32_e32 v90, 0
	.loc	1 31 20                         ; matmul.py:31:20
	s_branch .LBB0_109
.LBB0_101:
	.loc	1 0 20                          ; matmul.py:0:20
	v_mov_b32_e32 v136, 0
	.loc	1 31 51                         ; matmul.py:31:51
	s_cmp_ge_u32 s24, s11
	.loc	1 31 20                         ; matmul.py:31:20
	s_cbranch_scc1 .LBB0_94
.LBB0_102:
	.loc	1 34 18 is_stmt 1               ; matmul.py:34:18
	v_lshl_add_u64 v[2:3], s[12:13], 1, v[84:85]
	.loc	1 31 20                         ; matmul.py:31:20
	global_load_ushort v84, v[2:3], off
	.loc	1 31 51 is_stmt 0               ; matmul.py:31:51
	s_cmp_ge_u32 s25, s11
	.loc	1 31 20                         ; matmul.py:31:20
	s_cbranch_scc1 .LBB0_95
.LBB0_103:
	.loc	1 34 18 is_stmt 1               ; matmul.py:34:18
	v_lshl_add_u64 v[2:3], s[12:13], 1, v[86:87]
	.loc	1 31 20                         ; matmul.py:31:20
	global_load_ushort v85, v[2:3], off
	.loc	1 31 51 is_stmt 0               ; matmul.py:31:51
	s_cmp_ge_u32 s26, s11
	.loc	1 31 20                         ; matmul.py:31:20
	s_cbranch_scc1 .LBB0_96
.LBB0_104:
	.loc	1 34 18 is_stmt 1               ; matmul.py:34:18
	v_lshl_add_u64 v[2:3], s[12:13], 1, v[88:89]
	.loc	1 31 20                         ; matmul.py:31:20
	global_load_ushort v86, v[2:3], off
	.loc	1 31 51 is_stmt 0               ; matmul.py:31:51
	s_cmp_ge_u32 s27, s11
	.loc	1 31 20                         ; matmul.py:31:20
	s_cbranch_scc1 .LBB0_97
.LBB0_105:
	.loc	1 34 18 is_stmt 1               ; matmul.py:34:18
	v_lshl_add_u64 v[2:3], s[12:13], 1, v[90:91]
	.loc	1 31 20                         ; matmul.py:31:20
	global_load_ushort v87, v[2:3], off
	.loc	1 31 51 is_stmt 0               ; matmul.py:31:51
	s_cmp_ge_u32 s28, s11
	.loc	1 31 20                         ; matmul.py:31:20
	s_cbranch_scc1 .LBB0_98
.LBB0_106:
	.loc	1 34 18 is_stmt 1               ; matmul.py:34:18
	v_lshl_add_u64 v[2:3], s[12:13], 1, v[92:93]
	.loc	1 31 20                         ; matmul.py:31:20
	global_load_ushort v88, v[2:3], off
	.loc	1 31 51 is_stmt 0               ; matmul.py:31:51
	s_cmp_ge_u32 s29, s11
	.loc	1 31 20                         ; matmul.py:31:20
	s_cbranch_scc1 .LBB0_99
.LBB0_107:
	.loc	1 34 18 is_stmt 1               ; matmul.py:34:18
	v_lshl_add_u64 v[2:3], s[12:13], 1, v[94:95]
	.loc	1 31 20                         ; matmul.py:31:20
	global_load_ushort v89, v[2:3], off
	.loc	1 31 51 is_stmt 0               ; matmul.py:31:51
	s_cmp_ge_u32 s31, s11
	.loc	1 31 20                         ; matmul.py:31:20
	s_cbranch_scc1 .LBB0_100
.LBB0_108:
	.loc	1 34 18 is_stmt 1               ; matmul.py:34:18
	v_lshl_add_u64 v[2:3], s[12:13], 1, v[96:97]
	.loc	1 31 20                         ; matmul.py:31:20
	global_load_ushort v90, v[2:3], off
.LBB0_109:
	.loc	1 0 20 is_stmt 0                ; matmul.py:0:20
	v_and_b32_e32 v2, 0x580, v109
	v_and_b32_e32 v3, 24, v110
	;; [unrolled: 1-line block ×3, first 2 shown]
	v_bitop3_b32 v2, v2, v4, v3 bitop3:0x36
	v_xor_b32_e32 v105, s14, v2
	.loc	1 31 20                         ; matmul.py:31:20
	v_add_u32_e32 v82, 0, v105
	v_xor_b32_e32 v2, 32, v105
	v_add_u32_e32 v83, 0, v2
	ds_read_b64_tr_b16 v[92:93], v82 offset:8192
	ds_read_b64_tr_b16 v[94:95], v83 offset:8704
	;; [unrolled: 1-line block ×4, first 2 shown]
	.loc	1 32 35 is_stmt 1               ; matmul.py:32:35
	s_waitcnt lgkmcnt(2)
	v_mfma_f32_32x32x16_bf16 v[2:17], v[92:95], v[18:21], 0
.Ltmp13:
	.loc	2 43 30                         ; standard.py:43:30 @[ matmul.py:29:33 ]
	s_ashr_i32 s11, s30, 31
	s_lshr_b32 s11, s11, 27
	s_add_i32 s30, s30, s11
	s_ashr_i32 s11, s30, 5
.Ltmp14:
	.loc	1 29 22                         ; matmul.py:29:22
	s_max_i32 s11, s11, 2
	v_xor_b32_e32 v106, 0x220, v105
	s_cmp_eq_u32 s11, 2
	.loc	1 32 35                         ; matmul.py:32:35
	s_waitcnt lgkmcnt(0)
	v_mfma_f32_32x32x16_bf16 v[2:17], v[138:141], v[22:25], v[2:17]
	.loc	1 30 20                         ; matmul.py:30:20
	s_waitcnt lgkmcnt(0)
	s_barrier
	s_waitcnt vmcnt(0)
	ds_write_b16 v101, v121
	ds_write_b16 v101, v123 offset:1024
	ds_write_b16 v101, v125 offset:2048
	;; [unrolled: 1-line block ×15, first 2 shown]
	.loc	1 31 20                         ; matmul.py:31:20
	ds_write_b16 v101, v136 offset:8192
	ds_write_b16 v101, v87 offset:10240
	ds_write_b16 v102, v84 offset:8704
	ds_write_b16 v102, v88 offset:10752
	ds_write_b16 v103, v85 offset:9216
	ds_write_b16 v103, v89 offset:11264
	ds_write_b16 v104, v86 offset:9728
	ds_write_b16 v104, v90 offset:11776
	.loc	1 32 35                         ; matmul.py:32:35
	v_mfma_f32_32x32x16_bf16 v[18:33], v[92:95], v[116:119], 0
	v_mfma_f32_32x32x16_bf16 v[18:33], v[138:141], v[112:115], v[18:33]
	.loc	1 29 22                         ; matmul.py:29:22
	s_cbranch_scc1 .LBB0_161
; %bb.110:                              ; %.peel.next
	s_lshl_b64 s[20:21], s[12:13], 2
	s_add_u32 s4, s4, s20
	s_addc_u32 s5, s5, s21
	s_lshl_b64 s[12:13], s[12:13], 1
	s_lshl_b64 s[20:21], s[18:19], 2
	s_add_u32 s2, s2, s20
	v_lshlrev_b64 v[76:77], 1, v[76:77]
	v_lshlrev_b64 v[80:81], 1, v[80:81]
	v_lshlrev_b64 v[78:79], 1, v[78:79]
	v_lshlrev_b64 v[74:75], 1, v[74:75]
	v_lshlrev_b64 v[72:73], 1, v[72:73]
	v_lshlrev_b64 v[70:71], 1, v[70:71]
	v_lshlrev_b64 v[68:69], 1, v[68:69]
	v_lshlrev_b64 v[66:67], 1, v[66:67]
	v_lshlrev_b64 v[64:65], 1, v[64:65]
	s_addc_u32 s3, s3, s21
	s_lshl_b64 s[18:19], s[18:19], 1
	v_lshlrev_b64 v[62:63], 1, v[62:63]
	v_lshlrev_b64 v[60:61], 1, v[60:61]
	;; [unrolled: 1-line block ×15, first 2 shown]
	s_add_i32 s20, s11, -2
	s_sub_i32 s21, s10, 64
	s_branch .LBB0_113
.LBB0_111:                              ;   in Loop: Header=BB0_113 Depth=1
	.loc	1 29 22                         ; matmul.py:29:22
	v_lshl_add_u64 v[136:137], s[4:5], 0, v[76:77]
	.loc	1 31 20                         ; matmul.py:31:20
	global_load_ushort v133, v[136:137], off
.LBB0_112:                              ;   in Loop: Header=BB0_113 Depth=1
	ds_read_b64_tr_b16 v[136:137], v82 offset:8192
	ds_read_b64_tr_b16 v[138:139], v83 offset:8704
	;; [unrolled: 1-line block ×4, first 2 shown]
	.loc	1 29 22                         ; matmul.py:29:22
	s_add_u32 s4, s4, s12
	s_addc_u32 s5, s5, s13
	.loc	1 32 35                         ; matmul.py:32:35
	s_waitcnt lgkmcnt(2)
	v_mfma_f32_32x32x16_bf16 v[2:17], v[136:139], v[110:113], v[2:17]
	.loc	1 29 22                         ; matmul.py:29:22
	s_add_u32 s2, s2, s18
	s_addc_u32 s3, s3, s19
	s_add_i32 s20, s20, -1
	s_sub_i32 s21, s21, 32
	s_cmp_lg_u32 s20, 0
	.loc	1 30 20                         ; matmul.py:30:20
	s_waitcnt lgkmcnt(0)
	s_barrier
	.loc	1 32 35                         ; matmul.py:32:35
	v_mfma_f32_32x32x16_bf16 v[18:33], v[136:139], v[88:91], v[18:33]
	.loc	1 30 20                         ; matmul.py:30:20
	s_waitcnt vmcnt(0)
	ds_write_b16 v101, v97
	ds_write_b16 v101, v114 offset:1024
	ds_write_b16 v101, v116 offset:2048
	;; [unrolled: 1-line block ×15, first 2 shown]
	.loc	1 31 20                         ; matmul.py:31:20
	ds_write_b16 v101, v127 offset:8192
	ds_write_b16 v101, v131 offset:10240
	;; [unrolled: 1-line block ×8, first 2 shown]
	.loc	1 32 35                         ; matmul.py:32:35
	v_mfma_f32_32x32x16_bf16 v[2:17], v[140:143], v[92:95], v[2:17]
	v_mfma_f32_32x32x16_bf16 v[18:33], v[140:143], v[84:87], v[18:33]
	.loc	1 29 22                         ; matmul.py:29:22
	s_cbranch_scc0 .LBB0_161
.LBB0_113:                              ; =>This Inner Loop Header: Depth=1
	.loc	1 30 51                         ; matmul.py:30:51
	v_cmp_gt_i32_e32 vcc, s21, v98
	v_mov_b32_e32 v96, 0
	v_mov_b32_e32 v97, 0
	.loc	1 30 20 is_stmt 0               ; matmul.py:30:20
	s_and_saveexec_b64 s[10:11], vcc
	s_cbranch_execz .LBB0_115
; %bb.114:                              ;   in Loop: Header=BB0_113 Depth=1
	.loc	1 33 18 is_stmt 1               ; matmul.py:33:18
	v_lshl_add_u64 v[84:85], s[2:3], 0, v[34:35]
	.loc	1 30 20                         ; matmul.py:30:20
	global_load_ushort v97, v[84:85], off
.LBB0_115:                              ;   in Loop: Header=BB0_113 Depth=1
	.loc	1 0 20 is_stmt 0                ; matmul.py:0:20
	s_or_b64 exec, exec, s[10:11]
	.loc	1 30 20                         ; matmul.py:30:20
	s_and_saveexec_b64 s[10:11], vcc
	s_cbranch_execz .LBB0_117
; %bb.116:                              ;   in Loop: Header=BB0_113 Depth=1
	.loc	1 33 18 is_stmt 1               ; matmul.py:33:18
	v_lshl_add_u64 v[84:85], s[2:3], 0, v[36:37]
	.loc	1 30 20                         ; matmul.py:30:20
	global_load_ushort v96, v[84:85], off
.LBB0_117:                              ;   in Loop: Header=BB0_113 Depth=1
	.loc	1 0 20 is_stmt 0                ; matmul.py:0:20
	s_or_b64 exec, exec, s[10:11]
	v_mov_b32_e32 v109, 0
	v_mov_b32_e32 v114, 0
	.loc	1 30 20                         ; matmul.py:30:20
	s_and_saveexec_b64 s[10:11], vcc
	s_cbranch_execz .LBB0_119
; %bb.118:                              ;   in Loop: Header=BB0_113 Depth=1
	.loc	1 33 18 is_stmt 1               ; matmul.py:33:18
	v_lshl_add_u64 v[84:85], s[2:3], 0, v[38:39]
	.loc	1 30 20                         ; matmul.py:30:20
	global_load_ushort v114, v[84:85], off
.LBB0_119:                              ;   in Loop: Header=BB0_113 Depth=1
	.loc	1 0 20 is_stmt 0                ; matmul.py:0:20
	s_or_b64 exec, exec, s[10:11]
	.loc	1 30 20                         ; matmul.py:30:20
	s_and_saveexec_b64 s[10:11], vcc
	s_cbranch_execz .LBB0_121
; %bb.120:                              ;   in Loop: Header=BB0_113 Depth=1
	.loc	1 33 18 is_stmt 1               ; matmul.py:33:18
	v_lshl_add_u64 v[84:85], s[2:3], 0, v[40:41]
	.loc	1 30 20                         ; matmul.py:30:20
	global_load_ushort v109, v[84:85], off
.LBB0_121:                              ;   in Loop: Header=BB0_113 Depth=1
	.loc	1 0 20 is_stmt 0                ; matmul.py:0:20
	s_or_b64 exec, exec, s[10:11]
	v_mov_b32_e32 v115, 0
	v_mov_b32_e32 v116, 0
	.loc	1 30 20                         ; matmul.py:30:20
	;; [unrolled: 24-line block ×7, first 2 shown]
	s_and_saveexec_b64 s[10:11], vcc
	s_cbranch_execz .LBB0_143
; %bb.142:                              ;   in Loop: Header=BB0_113 Depth=1
	.loc	1 33 18 is_stmt 1               ; matmul.py:33:18
	v_lshl_add_u64 v[84:85], s[2:3], 0, v[62:63]
	.loc	1 30 20                         ; matmul.py:30:20
	global_load_ushort v126, v[84:85], off
.LBB0_143:                              ;   in Loop: Header=BB0_113 Depth=1
	.loc	1 0 20 is_stmt 0                ; matmul.py:0:20
	s_or_b64 exec, exec, s[10:11]
	.loc	1 30 20                         ; matmul.py:30:20
	s_and_saveexec_b64 s[10:11], vcc
	s_cbranch_execz .LBB0_145
; %bb.144:                              ;   in Loop: Header=BB0_113 Depth=1
	.loc	1 34 18 is_stmt 1               ; matmul.py:34:18
	v_lshl_add_u64 v[84:85], s[2:3], 0, v[64:65]
	.loc	1 30 20                         ; matmul.py:30:20
	global_load_ushort v125, v[84:85], off
.LBB0_145:                              ;   in Loop: Header=BB0_113 Depth=1
	.loc	1 0 20 is_stmt 0                ; matmul.py:0:20
	s_or_b64 exec, exec, s[10:11]
	.loc	1 30 20                         ; matmul.py:30:20
	s_waitcnt lgkmcnt(0)
	s_barrier
	ds_read_b128 v[110:113], v107
	ds_read_b128 v[88:91], v107 offset:4096
	ds_read_b128 v[92:95], v108
	ds_read_b128 v[84:87], v108 offset:4096
	.loc	1 31 51 is_stmt 1               ; matmul.py:31:51
	s_cmp_ge_i32 s23, s21
	.loc	1 31 20 is_stmt 0               ; matmul.py:31:20
	s_cbranch_scc1 .LBB0_153
; %bb.146:                              ;   in Loop: Header=BB0_113 Depth=1
	.loc	1 34 18 is_stmt 1               ; matmul.py:34:18
	v_lshl_add_u64 v[128:129], s[4:5], 0, v[66:67]
	.loc	1 31 20                         ; matmul.py:31:20
	global_load_ushort v127, v[128:129], off
	.loc	1 31 51 is_stmt 0               ; matmul.py:31:51
	s_cmp_ge_i32 s24, s21
	.loc	1 31 20                         ; matmul.py:31:20
	s_cbranch_scc0 .LBB0_154
.LBB0_147:                              ;   in Loop: Header=BB0_113 Depth=1
	.loc	1 0 20                          ; matmul.py:0:20
	v_mov_b32_e32 v128, 0
	.loc	1 31 51                         ; matmul.py:31:51
	s_cmp_ge_i32 s25, s21
	.loc	1 31 20                         ; matmul.py:31:20
	s_cbranch_scc0 .LBB0_155
.LBB0_148:                              ;   in Loop: Header=BB0_113 Depth=1
	.loc	1 0 20                          ; matmul.py:0:20
	v_mov_b32_e32 v129, 0
	.loc	1 31 51                         ; matmul.py:31:51
	s_cmp_ge_i32 s26, s21
	.loc	1 31 20                         ; matmul.py:31:20
	s_cbranch_scc0 .LBB0_156
.LBB0_149:                              ;   in Loop: Header=BB0_113 Depth=1
	.loc	1 0 20                          ; matmul.py:0:20
	v_mov_b32_e32 v130, 0
	.loc	1 31 51                         ; matmul.py:31:51
	s_cmp_ge_i32 s27, s21
	.loc	1 31 20                         ; matmul.py:31:20
	s_cbranch_scc0 .LBB0_157
.LBB0_150:                              ;   in Loop: Header=BB0_113 Depth=1
	.loc	1 0 20                          ; matmul.py:0:20
	v_mov_b32_e32 v131, 0
	.loc	1 31 51                         ; matmul.py:31:51
	s_cmp_ge_i32 s28, s21
	.loc	1 31 20                         ; matmul.py:31:20
	s_cbranch_scc0 .LBB0_158
.LBB0_151:                              ;   in Loop: Header=BB0_113 Depth=1
	.loc	1 0 20                          ; matmul.py:0:20
	v_mov_b32_e32 v132, 0
	.loc	1 31 51                         ; matmul.py:31:51
	s_cmp_ge_i32 s29, s21
	.loc	1 31 20                         ; matmul.py:31:20
	s_cbranch_scc0 .LBB0_159
.LBB0_152:                              ;   in Loop: Header=BB0_113 Depth=1
	.loc	1 0 20                          ; matmul.py:0:20
	v_mov_b32_e32 v134, 0
	.loc	1 31 51                         ; matmul.py:31:51
	s_cmp_ge_i32 s31, s21
	.loc	1 31 20                         ; matmul.py:31:20
	s_cbranch_scc0 .LBB0_111
	s_branch .LBB0_160
.LBB0_153:                              ;   in Loop: Header=BB0_113 Depth=1
	.loc	1 0 20                          ; matmul.py:0:20
	v_mov_b32_e32 v127, 0
	.loc	1 31 51                         ; matmul.py:31:51
	s_cmp_ge_i32 s24, s21
	.loc	1 31 20                         ; matmul.py:31:20
	s_cbranch_scc1 .LBB0_147
.LBB0_154:                              ;   in Loop: Header=BB0_113 Depth=1
	.loc	1 34 18 is_stmt 1               ; matmul.py:34:18
	v_lshl_add_u64 v[128:129], s[4:5], 0, v[68:69]
	.loc	1 31 20                         ; matmul.py:31:20
	global_load_ushort v128, v[128:129], off
	.loc	1 31 51 is_stmt 0               ; matmul.py:31:51
	s_cmp_ge_i32 s25, s21
	.loc	1 31 20                         ; matmul.py:31:20
	s_cbranch_scc1 .LBB0_148
.LBB0_155:                              ;   in Loop: Header=BB0_113 Depth=1
	.loc	1 34 18 is_stmt 1               ; matmul.py:34:18
	v_lshl_add_u64 v[130:131], s[4:5], 0, v[70:71]
	.loc	1 31 20                         ; matmul.py:31:20
	global_load_ushort v129, v[130:131], off
	.loc	1 31 51 is_stmt 0               ; matmul.py:31:51
	s_cmp_ge_i32 s26, s21
	.loc	1 31 20                         ; matmul.py:31:20
	s_cbranch_scc1 .LBB0_149
.LBB0_156:                              ;   in Loop: Header=BB0_113 Depth=1
	.loc	1 34 18 is_stmt 1               ; matmul.py:34:18
	v_lshl_add_u64 v[130:131], s[4:5], 0, v[72:73]
	.loc	1 31 20                         ; matmul.py:31:20
	global_load_ushort v130, v[130:131], off
	.loc	1 31 51 is_stmt 0               ; matmul.py:31:51
	s_cmp_ge_i32 s27, s21
	.loc	1 31 20                         ; matmul.py:31:20
	s_cbranch_scc1 .LBB0_150
.LBB0_157:                              ;   in Loop: Header=BB0_113 Depth=1
	.loc	1 34 18 is_stmt 1               ; matmul.py:34:18
	v_lshl_add_u64 v[132:133], s[4:5], 0, v[74:75]
	.loc	1 31 20                         ; matmul.py:31:20
	global_load_ushort v131, v[132:133], off
	.loc	1 31 51 is_stmt 0               ; matmul.py:31:51
	s_cmp_ge_i32 s28, s21
	.loc	1 31 20                         ; matmul.py:31:20
	s_cbranch_scc1 .LBB0_151
.LBB0_158:                              ;   in Loop: Header=BB0_113 Depth=1
	.loc	1 34 18 is_stmt 1               ; matmul.py:34:18
	v_lshl_add_u64 v[132:133], s[4:5], 0, v[78:79]
	.loc	1 31 20                         ; matmul.py:31:20
	global_load_ushort v132, v[132:133], off
	.loc	1 31 51 is_stmt 0               ; matmul.py:31:51
	s_cmp_ge_i32 s29, s21
	.loc	1 31 20                         ; matmul.py:31:20
	s_cbranch_scc1 .LBB0_152
.LBB0_159:                              ;   in Loop: Header=BB0_113 Depth=1
	.loc	1 34 18 is_stmt 1               ; matmul.py:34:18
	v_lshl_add_u64 v[134:135], s[4:5], 0, v[80:81]
	.loc	1 31 20                         ; matmul.py:31:20
	global_load_ushort v134, v[134:135], off
	.loc	1 31 51 is_stmt 0               ; matmul.py:31:51
	s_cmp_ge_i32 s31, s21
	.loc	1 31 20                         ; matmul.py:31:20
	s_cbranch_scc0 .LBB0_111
.LBB0_160:                              ;   in Loop: Header=BB0_113 Depth=1
	.loc	1 0 20                          ; matmul.py:0:20
	v_mov_b32_e32 v133, 0
	.loc	1 31 20                         ; matmul.py:31:20
	s_branch .LBB0_112
.LBB0_161:                              ; %Flow178
	.loc	1 31 20 is_stmt 1               ; matmul.py:31:20
	v_add_u32_e32 v34, 0, v105
	v_add_u32_e32 v36, 0, v106
	.loc	1 30 20                         ; matmul.py:30:20
	s_waitcnt lgkmcnt(0)
	s_barrier
	.loc	1 31 20                         ; matmul.py:31:20
	ds_read_b64_tr_b16 v[38:39], v34 offset:8192
	ds_read_b64_tr_b16 v[34:35], v34 offset:10240
	;; [unrolled: 1-line block ×4, first 2 shown]
	s_load_dword s33, s[0:1], 0x38
	.loc	1 32 35                         ; matmul.py:32:35
	s_andn2_b64 vcc, exec, s[16:17]
	s_cbranch_vccnz .LBB0_163
; %bb.162:
	.loc	1 30 20                         ; matmul.py:30:20
	v_lshlrev_b32_e32 v0, 2, v0
	v_and_b32_e32 v0, 48, v0
	s_lshl_b32 s0, s22, 4
	v_lshl_or_b32 v0, v98, 6, v0
	v_lshrrev_b32_e32 v42, 1, v100
	v_bitop3_b32 v0, s0, v0, v42 bitop3:0xf6
	v_add_u32_e32 v42, 0, v0
	ds_read_b128 v[44:47], v42
	v_xad_u32 v0, v0, 32, 0
	.loc	1 32 35                         ; matmul.py:32:35
	s_waitcnt lgkmcnt(0)
	v_mfma_f32_32x32x16_bf16 v[2:17], v[38:41], v[44:47], v[2:17]
	.loc	1 30 20                         ; matmul.py:30:20
	ds_read_b128 v[44:47], v0
	.loc	1 32 35                         ; matmul.py:32:35
	s_waitcnt lgkmcnt(0)
	v_mfma_f32_32x32x16_bf16 v[2:17], v[34:37], v[44:47], v[2:17]
	.loc	1 30 20                         ; matmul.py:30:20
	ds_read_b128 v[42:45], v42 offset:4096
	.loc	1 32 35                         ; matmul.py:32:35
	s_waitcnt lgkmcnt(0)
	v_mfma_f32_32x32x16_bf16 v[18:33], v[38:41], v[42:45], v[18:33]
	.loc	1 30 20                         ; matmul.py:30:20
	ds_read_b128 v[38:41], v0 offset:4096
	.loc	1 32 35                         ; matmul.py:32:35
	s_waitcnt lgkmcnt(0)
	v_mfma_f32_32x32x16_bf16 v[18:33], v[34:37], v[38:41], v[18:33]
.LBB0_163:                              ; %._crit_edge._crit_edge
	.loc	1 22 51                         ; matmul.py:22:51
	s_lshr_b32 s0, s22, 2
	v_or_b32_e32 v0, s0, v98
	.loc	1 22 38 is_stmt 0               ; matmul.py:22:38
	v_or_b32_e32 v42, v1, v0
	.loc	1 23 51 is_stmt 1               ; matmul.py:23:51
	v_lshrrev_b32_e32 v0, 2, v100
	s_lshr_b32 s0, s14, 1
	v_or_b32_e32 v0, s0, v0
	.loc	1 23 38 is_stmt 0               ; matmul.py:23:38
	v_or_b32_e32 v44, v99, v0
	.loc	1 39 33 is_stmt 1               ; matmul.py:39:33
	v_mul_lo_u32 v0, v42, s15
	.loc	1 39 21 is_stmt 0               ; matmul.py:39:21
	v_ashrrev_i32_e32 v1, 31, v0
	.loc	1 35 23 is_stmt 1               ; matmul.py:35:23
	v_cvt_pk_bf16_f32 v51, v2, v3
	v_cvt_pk_bf16_f32 v50, v4, v5
	;; [unrolled: 1-line block ×8, first 2 shown]
	s_waitcnt lgkmcnt(0)
	v_cvt_pk_bf16_f32 v41, v18, v19
	v_cvt_pk_bf16_f32 v40, v20, v21
	;; [unrolled: 1-line block ×8, first 2 shown]
	.loc	1 39 21                         ; matmul.py:39:21
	v_lshl_add_u64 v[2:3], v[0:1], 1, s[6:7]
	.loc	1 39 64 is_stmt 0               ; matmul.py:39:64
	v_mul_lo_u32 v0, v44, s33
	.loc	1 40 33 is_stmt 1               ; matmul.py:40:33
	v_cmp_gt_i32_e64 s[0:1], s8, v42
	.loc	1 40 58 is_stmt 0               ; matmul.py:40:58
	v_cmp_gt_i32_e32 vcc, s9, v44
	.loc	1 39 52 is_stmt 1               ; matmul.py:39:52
	v_ashrrev_i32_e32 v1, 31, v0
	.loc	1 40 39                         ; matmul.py:40:39
	s_and_b64 s[4:5], s[0:1], vcc
	.loc	1 35 23                         ; matmul.py:35:23
	v_permlane32_swap_b32_e32 v51, v49
	v_permlane32_swap_b32_e32 v50, v48
	;; [unrolled: 1-line block ×8, first 2 shown]
	.loc	1 41 21                         ; matmul.py:41:21
	s_and_saveexec_b64 s[2:3], s[4:5]
	s_cbranch_execz .LBB0_165
; %bb.164:
	.loc	1 0 21 is_stmt 0                ; matmul.py:0:21
	v_lshl_add_u64 v[4:5], v[0:1], 1, v[2:3]
	.loc	1 41 21                         ; matmul.py:41:21
	global_store_short v[4:5], v51, off
.LBB0_165:
	.loc	1 0 21                          ; matmul.py:0:21
	s_or_b64 exec, exec, s[2:3]
	.loc	1 23 38 is_stmt 1               ; matmul.py:23:38
	v_or_b32_e32 v6, 1, v44
	.loc	1 39 64                         ; matmul.py:39:64
	v_mul_lo_u32 v4, v6, s33
	.loc	1 40 58                         ; matmul.py:40:58
	v_cmp_gt_i32_e64 s[2:3], s9, v6
	.loc	1 39 52                         ; matmul.py:39:52
	v_ashrrev_i32_e32 v5, 31, v4
	.loc	1 40 39                         ; matmul.py:40:39
	s_and_b64 s[10:11], s[2:3], s[0:1]
	.loc	1 41 21                         ; matmul.py:41:21
	s_and_saveexec_b64 s[4:5], s[10:11]
	s_cbranch_execz .LBB0_167
; %bb.166:
	.loc	1 39 52                         ; matmul.py:39:52
	v_lshl_add_u64 v[6:7], v[4:5], 1, v[2:3]
	.loc	1 41 21                         ; matmul.py:41:21
	global_store_short_d16_hi v[6:7], v51, off
.LBB0_167:
	.loc	1 0 21 is_stmt 0                ; matmul.py:0:21
	s_or_b64 exec, exec, s[4:5]
	.loc	1 23 38 is_stmt 1               ; matmul.py:23:38
	v_or_b32_e32 v8, 2, v44
	.loc	1 39 64                         ; matmul.py:39:64
	v_mul_lo_u32 v6, v8, s33
	.loc	1 40 58                         ; matmul.py:40:58
	v_cmp_gt_i32_e64 s[4:5], s9, v8
	.loc	1 39 52                         ; matmul.py:39:52
	v_ashrrev_i32_e32 v7, 31, v6
	.loc	1 40 39                         ; matmul.py:40:39
	s_and_b64 s[12:13], s[4:5], s[0:1]
	.loc	1 41 21                         ; matmul.py:41:21
	s_and_saveexec_b64 s[10:11], s[12:13]
	s_cbranch_execz .LBB0_169
; %bb.168:
	.loc	1 39 52                         ; matmul.py:39:52
	v_lshl_add_u64 v[8:9], v[6:7], 1, v[2:3]
	.loc	1 41 21                         ; matmul.py:41:21
	global_store_short v[8:9], v50, off
.LBB0_169:
	.loc	1 0 21 is_stmt 0                ; matmul.py:0:21
	s_or_b64 exec, exec, s[10:11]
	.loc	1 23 38 is_stmt 1               ; matmul.py:23:38
	v_or_b32_e32 v10, 3, v44
	.loc	1 39 64                         ; matmul.py:39:64
	v_mul_lo_u32 v8, v10, s33
	.loc	1 40 58                         ; matmul.py:40:58
	v_cmp_gt_i32_e64 s[38:39], s9, v10
	.loc	1 39 52                         ; matmul.py:39:52
	v_ashrrev_i32_e32 v9, 31, v8
	.loc	1 40 39                         ; matmul.py:40:39
	s_and_b64 s[12:13], s[38:39], s[0:1]
	.loc	1 41 21                         ; matmul.py:41:21
	s_and_saveexec_b64 s[10:11], s[12:13]
	s_cbranch_execz .LBB0_171
; %bb.170:
	.loc	1 39 52                         ; matmul.py:39:52
	v_lshl_add_u64 v[10:11], v[8:9], 1, v[2:3]
	.loc	1 41 21                         ; matmul.py:41:21
	global_store_short_d16_hi v[10:11], v50, off
.LBB0_171:
	.loc	1 0 21 is_stmt 0                ; matmul.py:0:21
	s_or_b64 exec, exec, s[10:11]
	.loc	1 23 38 is_stmt 1               ; matmul.py:23:38
	v_or_b32_e32 v12, 4, v44
	.loc	1 39 64                         ; matmul.py:39:64
	v_mul_lo_u32 v10, v12, s33
	.loc	1 40 58                         ; matmul.py:40:58
	v_cmp_gt_i32_e64 s[10:11], s9, v12
	.loc	1 39 52                         ; matmul.py:39:52
	v_ashrrev_i32_e32 v11, 31, v10
	.loc	1 40 39                         ; matmul.py:40:39
	s_and_b64 s[16:17], s[10:11], s[0:1]
	.loc	1 41 21                         ; matmul.py:41:21
	s_and_saveexec_b64 s[12:13], s[16:17]
	s_cbranch_execz .LBB0_173
; %bb.172:
	.loc	1 39 52                         ; matmul.py:39:52
	v_lshl_add_u64 v[12:13], v[10:11], 1, v[2:3]
	.loc	1 41 21                         ; matmul.py:41:21
	global_store_short v[12:13], v49, off
.LBB0_173:
	.loc	1 0 21 is_stmt 0                ; matmul.py:0:21
	;; [unrolled: 42-line block ×7, first 2 shown]
	s_or_b64 exec, exec, s[34:35]
	.loc	1 23 38 is_stmt 1               ; matmul.py:23:38
	v_or_b32_e32 v44, 23, v44
	.loc	1 39 64                         ; matmul.py:39:64
	v_mul_lo_u32 v32, v44, s33
	.loc	1 40 58                         ; matmul.py:40:58
	v_cmp_gt_i32_e64 s[34:35], s9, v44
	.loc	1 39 52                         ; matmul.py:39:52
	v_ashrrev_i32_e32 v33, 31, v32
	.loc	1 40 39                         ; matmul.py:40:39
	s_and_b64 s[40:41], s[34:35], s[0:1]
	.loc	1 41 21                         ; matmul.py:41:21
	s_and_saveexec_b64 s[0:1], s[40:41]
	s_cbranch_execz .LBB0_195
; %bb.194:
	.loc	1 39 52                         ; matmul.py:39:52
	v_lshl_add_u64 v[2:3], v[32:33], 1, v[2:3]
	.loc	1 41 21                         ; matmul.py:41:21
	global_store_short_d16_hi v[2:3], v43, off
.LBB0_195:
	.loc	1 0 21 is_stmt 0                ; matmul.py:0:21
	s_or_b64 exec, exec, s[0:1]
	.loc	1 22 38 is_stmt 1               ; matmul.py:22:38
	v_or_b32_e32 v42, 64, v42
	.loc	1 39 33                         ; matmul.py:39:33
	v_mul_lo_u32 v2, v42, s15
	.loc	1 39 21 is_stmt 0               ; matmul.py:39:21
	v_ashrrev_i32_e32 v3, 31, v2
	.loc	1 40 33 is_stmt 1               ; matmul.py:40:33
	v_cmp_gt_i32_e64 s[0:1], s8, v42
	.loc	1 39 21                         ; matmul.py:39:21
	v_lshl_add_u64 v[2:3], v[2:3], 1, s[6:7]
	.loc	1 40 39                         ; matmul.py:40:39
	s_and_b64 s[8:9], s[0:1], vcc
	.loc	1 41 21                         ; matmul.py:41:21
	s_and_saveexec_b64 s[6:7], s[8:9]
	s_cbranch_execnz .LBB0_212
; %bb.196:
	.loc	1 0 21 is_stmt 0                ; matmul.py:0:21
	s_or_b64 exec, exec, s[6:7]
	.loc	1 40 39 is_stmt 1               ; matmul.py:40:39
	s_and_b64 s[6:7], s[0:1], s[2:3]
	.loc	1 41 21                         ; matmul.py:41:21
	s_and_saveexec_b64 s[2:3], s[6:7]
	s_cbranch_execnz .LBB0_213
.LBB0_197:
	.loc	1 0 21 is_stmt 0                ; matmul.py:0:21
	s_or_b64 exec, exec, s[2:3]
	.loc	1 40 39 is_stmt 1               ; matmul.py:40:39
	s_and_b64 s[4:5], s[0:1], s[4:5]
	.loc	1 41 21                         ; matmul.py:41:21
	s_and_saveexec_b64 s[2:3], s[4:5]
	s_cbranch_execnz .LBB0_214
.LBB0_198:
	.loc	1 0 21 is_stmt 0                ; matmul.py:0:21
	s_or_b64 exec, exec, s[2:3]
	.loc	1 40 39 is_stmt 1               ; matmul.py:40:39
	s_and_b64 s[4:5], s[0:1], s[38:39]
	.loc	1 41 21                         ; matmul.py:41:21
	s_and_saveexec_b64 s[2:3], s[4:5]
	s_cbranch_execnz .LBB0_215
.LBB0_199:
	.loc	1 0 21 is_stmt 0                ; matmul.py:0:21
	s_or_b64 exec, exec, s[2:3]
	.loc	1 40 39 is_stmt 1               ; matmul.py:40:39
	s_and_b64 s[4:5], s[0:1], s[10:11]
	.loc	1 41 21                         ; matmul.py:41:21
	s_and_saveexec_b64 s[2:3], s[4:5]
	s_cbranch_execnz .LBB0_216
.LBB0_200:
	.loc	1 0 21 is_stmt 0                ; matmul.py:0:21
	s_or_b64 exec, exec, s[2:3]
	.loc	1 40 39 is_stmt 1               ; matmul.py:40:39
	s_and_b64 s[4:5], s[0:1], s[12:13]
	.loc	1 41 21                         ; matmul.py:41:21
	s_and_saveexec_b64 s[2:3], s[4:5]
	s_cbranch_execnz .LBB0_217
.LBB0_201:
	.loc	1 0 21 is_stmt 0                ; matmul.py:0:21
	s_or_b64 exec, exec, s[2:3]
	.loc	1 40 39 is_stmt 1               ; matmul.py:40:39
	s_and_b64 s[4:5], s[0:1], s[36:37]
	.loc	1 41 21                         ; matmul.py:41:21
	s_and_saveexec_b64 s[2:3], s[4:5]
	s_cbranch_execnz .LBB0_218
.LBB0_202:
	.loc	1 0 21 is_stmt 0                ; matmul.py:0:21
	s_or_b64 exec, exec, s[2:3]
	.loc	1 40 39 is_stmt 1               ; matmul.py:40:39
	s_and_b64 s[4:5], s[0:1], s[16:17]
	.loc	1 41 21                         ; matmul.py:41:21
	s_and_saveexec_b64 s[2:3], s[4:5]
	s_cbranch_execnz .LBB0_219
.LBB0_203:
	.loc	1 0 21 is_stmt 0                ; matmul.py:0:21
	s_or_b64 exec, exec, s[2:3]
	.loc	1 40 39 is_stmt 1               ; matmul.py:40:39
	s_and_b64 s[4:5], s[0:1], s[18:19]
	.loc	1 41 21                         ; matmul.py:41:21
	s_and_saveexec_b64 s[2:3], s[4:5]
	s_cbranch_execnz .LBB0_220
.LBB0_204:
	.loc	1 0 21 is_stmt 0                ; matmul.py:0:21
	s_or_b64 exec, exec, s[2:3]
	.loc	1 40 39 is_stmt 1               ; matmul.py:40:39
	s_and_b64 s[4:5], s[0:1], s[20:21]
	.loc	1 41 21                         ; matmul.py:41:21
	s_and_saveexec_b64 s[2:3], s[4:5]
	s_cbranch_execnz .LBB0_221
.LBB0_205:
	.loc	1 0 21 is_stmt 0                ; matmul.py:0:21
	s_or_b64 exec, exec, s[2:3]
	.loc	1 40 39 is_stmt 1               ; matmul.py:40:39
	s_and_b64 s[4:5], s[0:1], s[22:23]
	.loc	1 41 21                         ; matmul.py:41:21
	s_and_saveexec_b64 s[2:3], s[4:5]
	s_cbranch_execnz .LBB0_222
.LBB0_206:
	.loc	1 0 21 is_stmt 0                ; matmul.py:0:21
	s_or_b64 exec, exec, s[2:3]
	.loc	1 40 39 is_stmt 1               ; matmul.py:40:39
	s_and_b64 s[4:5], s[0:1], s[24:25]
	.loc	1 41 21                         ; matmul.py:41:21
	s_and_saveexec_b64 s[2:3], s[4:5]
	s_cbranch_execnz .LBB0_223
.LBB0_207:
	.loc	1 0 21 is_stmt 0                ; matmul.py:0:21
	s_or_b64 exec, exec, s[2:3]
	.loc	1 40 39 is_stmt 1               ; matmul.py:40:39
	s_and_b64 s[4:5], s[0:1], s[26:27]
	.loc	1 41 21                         ; matmul.py:41:21
	s_and_saveexec_b64 s[2:3], s[4:5]
	s_cbranch_execnz .LBB0_224
.LBB0_208:
	.loc	1 0 21 is_stmt 0                ; matmul.py:0:21
	s_or_b64 exec, exec, s[2:3]
	.loc	1 40 39 is_stmt 1               ; matmul.py:40:39
	s_and_b64 s[4:5], s[0:1], s[28:29]
	.loc	1 41 21                         ; matmul.py:41:21
	s_and_saveexec_b64 s[2:3], s[4:5]
	s_cbranch_execnz .LBB0_225
.LBB0_209:
	.loc	1 0 21 is_stmt 0                ; matmul.py:0:21
	s_or_b64 exec, exec, s[2:3]
	.loc	1 40 39 is_stmt 1               ; matmul.py:40:39
	s_and_b64 s[4:5], s[0:1], s[30:31]
	.loc	1 41 21                         ; matmul.py:41:21
	s_and_saveexec_b64 s[2:3], s[4:5]
	s_cbranch_execnz .LBB0_226
.LBB0_210:
	.loc	1 0 21 is_stmt 0                ; matmul.py:0:21
	s_or_b64 exec, exec, s[2:3]
	.loc	1 40 39 is_stmt 1               ; matmul.py:40:39
	s_and_b64 s[0:1], s[0:1], s[34:35]
	.loc	1 41 21                         ; matmul.py:41:21
	s_and_saveexec_b64 s[2:3], s[0:1]
	s_cbranch_execnz .LBB0_227
.LBB0_211:
	.loc	1 41 4 is_stmt 0                ; matmul.py:41:4
	s_endpgm
.LBB0_212:
	.loc	1 39 52 is_stmt 1               ; matmul.py:39:52
	v_lshl_add_u64 v[0:1], v[0:1], 1, v[2:3]
	.loc	1 41 21                         ; matmul.py:41:21
	global_store_short v[0:1], v41, off
	s_or_b64 exec, exec, s[6:7]
	.loc	1 40 39                         ; matmul.py:40:39
	s_and_b64 s[6:7], s[0:1], s[2:3]
	.loc	1 41 21                         ; matmul.py:41:21
	s_and_saveexec_b64 s[2:3], s[6:7]
	s_cbranch_execz .LBB0_197
.LBB0_213:
	.loc	1 39 52                         ; matmul.py:39:52
	v_lshl_add_u64 v[0:1], v[4:5], 1, v[2:3]
	.loc	1 41 21                         ; matmul.py:41:21
	global_store_short_d16_hi v[0:1], v41, off
	s_or_b64 exec, exec, s[2:3]
	.loc	1 40 39                         ; matmul.py:40:39
	s_and_b64 s[4:5], s[0:1], s[4:5]
	.loc	1 41 21                         ; matmul.py:41:21
	s_and_saveexec_b64 s[2:3], s[4:5]
	s_cbranch_execz .LBB0_198
.LBB0_214:
	.loc	1 39 52                         ; matmul.py:39:52
	v_lshl_add_u64 v[0:1], v[6:7], 1, v[2:3]
	.loc	1 41 21                         ; matmul.py:41:21
	global_store_short v[0:1], v40, off
	s_or_b64 exec, exec, s[2:3]
	.loc	1 40 39                         ; matmul.py:40:39
	s_and_b64 s[4:5], s[0:1], s[38:39]
	.loc	1 41 21                         ; matmul.py:41:21
	s_and_saveexec_b64 s[2:3], s[4:5]
	s_cbranch_execz .LBB0_199
.LBB0_215:
	.loc	1 39 52                         ; matmul.py:39:52
	v_lshl_add_u64 v[0:1], v[8:9], 1, v[2:3]
	.loc	1 41 21                         ; matmul.py:41:21
	global_store_short_d16_hi v[0:1], v40, off
	s_or_b64 exec, exec, s[2:3]
	.loc	1 40 39                         ; matmul.py:40:39
	s_and_b64 s[4:5], s[0:1], s[10:11]
	.loc	1 41 21                         ; matmul.py:41:21
	s_and_saveexec_b64 s[2:3], s[4:5]
	s_cbranch_execz .LBB0_200
.LBB0_216:
	.loc	1 39 52                         ; matmul.py:39:52
	v_lshl_add_u64 v[0:1], v[10:11], 1, v[2:3]
	.loc	1 41 21                         ; matmul.py:41:21
	global_store_short v[0:1], v39, off
	s_or_b64 exec, exec, s[2:3]
	.loc	1 40 39                         ; matmul.py:40:39
	s_and_b64 s[4:5], s[0:1], s[12:13]
	.loc	1 41 21                         ; matmul.py:41:21
	s_and_saveexec_b64 s[2:3], s[4:5]
	s_cbranch_execz .LBB0_201
.LBB0_217:
	.loc	1 39 52                         ; matmul.py:39:52
	v_lshl_add_u64 v[0:1], v[12:13], 1, v[2:3]
	.loc	1 41 21                         ; matmul.py:41:21
	global_store_short_d16_hi v[0:1], v39, off
	s_or_b64 exec, exec, s[2:3]
	.loc	1 40 39                         ; matmul.py:40:39
	s_and_b64 s[4:5], s[0:1], s[36:37]
	.loc	1 41 21                         ; matmul.py:41:21
	s_and_saveexec_b64 s[2:3], s[4:5]
	s_cbranch_execz .LBB0_202
.LBB0_218:
	.loc	1 39 52                         ; matmul.py:39:52
	v_lshl_add_u64 v[0:1], v[14:15], 1, v[2:3]
	.loc	1 41 21                         ; matmul.py:41:21
	global_store_short v[0:1], v38, off
	s_or_b64 exec, exec, s[2:3]
	.loc	1 40 39                         ; matmul.py:40:39
	s_and_b64 s[4:5], s[0:1], s[16:17]
	.loc	1 41 21                         ; matmul.py:41:21
	s_and_saveexec_b64 s[2:3], s[4:5]
	s_cbranch_execz .LBB0_203
.LBB0_219:
	.loc	1 39 52                         ; matmul.py:39:52
	v_lshl_add_u64 v[0:1], v[16:17], 1, v[2:3]
	.loc	1 41 21                         ; matmul.py:41:21
	global_store_short_d16_hi v[0:1], v38, off
	s_or_b64 exec, exec, s[2:3]
	.loc	1 40 39                         ; matmul.py:40:39
	s_and_b64 s[4:5], s[0:1], s[18:19]
	.loc	1 41 21                         ; matmul.py:41:21
	s_and_saveexec_b64 s[2:3], s[4:5]
	s_cbranch_execz .LBB0_204
.LBB0_220:
	.loc	1 39 52                         ; matmul.py:39:52
	v_lshl_add_u64 v[0:1], v[18:19], 1, v[2:3]
	.loc	1 41 21                         ; matmul.py:41:21
	global_store_short v[0:1], v37, off
	s_or_b64 exec, exec, s[2:3]
	.loc	1 40 39                         ; matmul.py:40:39
	s_and_b64 s[4:5], s[0:1], s[20:21]
	.loc	1 41 21                         ; matmul.py:41:21
	s_and_saveexec_b64 s[2:3], s[4:5]
	s_cbranch_execz .LBB0_205
.LBB0_221:
	.loc	1 39 52                         ; matmul.py:39:52
	v_lshl_add_u64 v[0:1], v[20:21], 1, v[2:3]
	.loc	1 41 21                         ; matmul.py:41:21
	global_store_short_d16_hi v[0:1], v37, off
	s_or_b64 exec, exec, s[2:3]
	.loc	1 40 39                         ; matmul.py:40:39
	s_and_b64 s[4:5], s[0:1], s[22:23]
	.loc	1 41 21                         ; matmul.py:41:21
	s_and_saveexec_b64 s[2:3], s[4:5]
	s_cbranch_execz .LBB0_206
.LBB0_222:
	.loc	1 39 52                         ; matmul.py:39:52
	v_lshl_add_u64 v[0:1], v[22:23], 1, v[2:3]
	.loc	1 41 21                         ; matmul.py:41:21
	global_store_short v[0:1], v36, off
	s_or_b64 exec, exec, s[2:3]
	.loc	1 40 39                         ; matmul.py:40:39
	s_and_b64 s[4:5], s[0:1], s[24:25]
	.loc	1 41 21                         ; matmul.py:41:21
	s_and_saveexec_b64 s[2:3], s[4:5]
	s_cbranch_execz .LBB0_207
.LBB0_223:
	.loc	1 39 52                         ; matmul.py:39:52
	v_lshl_add_u64 v[0:1], v[24:25], 1, v[2:3]
	.loc	1 41 21                         ; matmul.py:41:21
	global_store_short_d16_hi v[0:1], v36, off
	s_or_b64 exec, exec, s[2:3]
	.loc	1 40 39                         ; matmul.py:40:39
	s_and_b64 s[4:5], s[0:1], s[26:27]
	.loc	1 41 21                         ; matmul.py:41:21
	s_and_saveexec_b64 s[2:3], s[4:5]
	s_cbranch_execz .LBB0_208
.LBB0_224:
	.loc	1 39 52                         ; matmul.py:39:52
	v_lshl_add_u64 v[0:1], v[26:27], 1, v[2:3]
	.loc	1 41 21                         ; matmul.py:41:21
	global_store_short v[0:1], v35, off
	s_or_b64 exec, exec, s[2:3]
	.loc	1 40 39                         ; matmul.py:40:39
	s_and_b64 s[4:5], s[0:1], s[28:29]
	.loc	1 41 21                         ; matmul.py:41:21
	s_and_saveexec_b64 s[2:3], s[4:5]
	s_cbranch_execz .LBB0_209
.LBB0_225:
	.loc	1 39 52                         ; matmul.py:39:52
	v_lshl_add_u64 v[0:1], v[28:29], 1, v[2:3]
	.loc	1 41 21                         ; matmul.py:41:21
	global_store_short_d16_hi v[0:1], v35, off
	s_or_b64 exec, exec, s[2:3]
	.loc	1 40 39                         ; matmul.py:40:39
	s_and_b64 s[4:5], s[0:1], s[30:31]
	.loc	1 41 21                         ; matmul.py:41:21
	s_and_saveexec_b64 s[2:3], s[4:5]
	s_cbranch_execz .LBB0_210
.LBB0_226:
	.loc	1 39 52                         ; matmul.py:39:52
	v_lshl_add_u64 v[0:1], v[30:31], 1, v[2:3]
	.loc	1 41 21                         ; matmul.py:41:21
	global_store_short v[0:1], v34, off
	s_or_b64 exec, exec, s[2:3]
	.loc	1 40 39                         ; matmul.py:40:39
	s_and_b64 s[0:1], s[0:1], s[34:35]
	.loc	1 41 21                         ; matmul.py:41:21
	s_and_saveexec_b64 s[2:3], s[0:1]
	s_cbranch_execz .LBB0_211
.LBB0_227:
	.loc	1 39 52                         ; matmul.py:39:52
	v_lshl_add_u64 v[0:1], v[32:33], 1, v[2:3]
	.loc	1 41 21                         ; matmul.py:41:21
	global_store_short_d16_hi v[0:1], v34, off
	.loc	1 41 4 is_stmt 0                ; matmul.py:41:4
	s_endpgm
.Ltmp15:
	.section	.rodata,"a",@progbits
	.p2align	6, 0x0
	.amdhsa_kernel matmul_kernel
		.amdhsa_group_segment_fixed_size 0
		.amdhsa_private_segment_fixed_size 0
		.amdhsa_kernarg_size 80
		.amdhsa_user_sgpr_count 16
		.amdhsa_user_sgpr_dispatch_ptr 0
		.amdhsa_user_sgpr_queue_ptr 0
		.amdhsa_user_sgpr_kernarg_segment_ptr 1
		.amdhsa_user_sgpr_dispatch_id 0
		.amdhsa_user_sgpr_kernarg_preload_length 14
		.amdhsa_user_sgpr_kernarg_preload_offset 0
		.amdhsa_user_sgpr_private_segment_size 0
		.amdhsa_uses_dynamic_stack 0
		.amdhsa_enable_private_segment 0
		.amdhsa_system_sgpr_workgroup_id_x 1
		.amdhsa_system_sgpr_workgroup_id_y 0
		.amdhsa_system_sgpr_workgroup_id_z 0
		.amdhsa_system_sgpr_workgroup_info 0
		.amdhsa_system_vgpr_workitem_id 0
		.amdhsa_next_free_vgpr 144
		.amdhsa_next_free_sgpr 42
		.amdhsa_accum_offset 144
		.amdhsa_reserve_vcc 1
		.amdhsa_reserve_xnack_mask 1
		.amdhsa_float_round_mode_32 0
		.amdhsa_float_round_mode_16_64 0
		.amdhsa_float_denorm_mode_32 3
		.amdhsa_float_denorm_mode_16_64 3
		.amdhsa_dx10_clamp 1
		.amdhsa_ieee_mode 1
		.amdhsa_fp16_overflow 0
		.amdhsa_tg_split 0
		.amdhsa_exception_fp_ieee_invalid_op 0
		.amdhsa_exception_fp_denorm_src 0
		.amdhsa_exception_fp_ieee_div_zero 0
		.amdhsa_exception_fp_ieee_overflow 0
		.amdhsa_exception_fp_ieee_underflow 0
		.amdhsa_exception_fp_ieee_inexact 0
		.amdhsa_exception_int_div_zero 0
	.end_amdhsa_kernel
	.text
.Lfunc_end0:
	.size	matmul_kernel, .Lfunc_end0-matmul_kernel
	.cfi_endproc
                                        ; -- End function
	.set matmul_kernel.num_vgpr, 144
	.set matmul_kernel.num_agpr, 0
	.set matmul_kernel.numbered_sgpr, 42
	.set matmul_kernel.num_named_barrier, 0
	.set matmul_kernel.private_seg_size, 0
	.set matmul_kernel.uses_vcc, 1
	.set matmul_kernel.uses_flat_scratch, 0
	.set matmul_kernel.has_dyn_sized_stack, 0
	.set matmul_kernel.has_recursion, 0
	.set matmul_kernel.has_indirect_call, 0
	.section	.AMDGPU.csdata,"",@progbits
; Kernel info:
; codeLenInByte = 8280
; TotalNumSgprs: 48
; NumVgprs: 144
; NumAgprs: 0
; TotalNumVgprs: 144
; ScratchSize: 0
; MemoryBound: 0
; FloatMode: 240
; IeeeMode: 1
; LDSByteSize: 0 bytes/workgroup (compile time only)
; SGPRBlocks: 5
; VGPRBlocks: 17
; NumSGPRsForWavesPerEU: 48
; NumVGPRsForWavesPerEU: 144
; AccumOffset: 144
; Occupancy: 3
; WaveLimiterHint : 0
; COMPUTE_PGM_RSRC2:SCRATCH_EN: 0
; COMPUTE_PGM_RSRC2:USER_SGPR: 16
; COMPUTE_PGM_RSRC2:TRAP_HANDLER: 0
; COMPUTE_PGM_RSRC2:TGID_X_EN: 1
; COMPUTE_PGM_RSRC2:TGID_Y_EN: 0
; COMPUTE_PGM_RSRC2:TGID_Z_EN: 0
; COMPUTE_PGM_RSRC2:TIDIG_COMP_CNT: 0
; COMPUTE_PGM_RSRC3_GFX90A:ACCUM_OFFSET: 35
; COMPUTE_PGM_RSRC3_GFX90A:TG_SPLIT: 0
	.text
	.p2alignl 6, 3212836864
	.fill 256, 4, 3212836864
	.section	.AMDGPU.gpr_maximums,"",@progbits
	.set amdgpu.max_num_vgpr, 0
	.set amdgpu.max_num_agpr, 0
	.set amdgpu.max_num_sgpr, 0
	.set amdgpu.max_num_named_barrier, 0
	.text
	.section	.debug_abbrev,"",@progbits
	.byte	1                               ; Abbreviation Code
	.byte	17                              ; DW_TAG_compile_unit
	.byte	1                               ; DW_CHILDREN_yes
	.byte	37                              ; DW_AT_producer
	.byte	14                              ; DW_FORM_strp
	.byte	19                              ; DW_AT_language
	.byte	5                               ; DW_FORM_data2
	.byte	3                               ; DW_AT_name
	.byte	14                              ; DW_FORM_strp
	.byte	16                              ; DW_AT_stmt_list
	.byte	23                              ; DW_FORM_sec_offset
	.byte	27                              ; DW_AT_comp_dir
	.byte	14                              ; DW_FORM_strp
	.byte	17                              ; DW_AT_low_pc
	.byte	1                               ; DW_FORM_addr
	.byte	18                              ; DW_AT_high_pc
	.byte	6                               ; DW_FORM_data4
	.byte	0                               ; EOM(1)
	.byte	0                               ; EOM(2)
	.byte	2                               ; Abbreviation Code
	.byte	46                              ; DW_TAG_subprogram
	.byte	0                               ; DW_CHILDREN_no
	.byte	3                               ; DW_AT_name
	.byte	14                              ; DW_FORM_strp
	.byte	32                              ; DW_AT_inline
	.byte	11                              ; DW_FORM_data1
	.byte	0                               ; EOM(1)
	.byte	0                               ; EOM(2)
	.byte	3                               ; Abbreviation Code
	.byte	46                              ; DW_TAG_subprogram
	.byte	1                               ; DW_CHILDREN_yes
	.byte	17                              ; DW_AT_low_pc
	.byte	1                               ; DW_FORM_addr
	.byte	18                              ; DW_AT_high_pc
	.byte	6                               ; DW_FORM_data4
	.byte	49                              ; DW_AT_abstract_origin
	.byte	19                              ; DW_FORM_ref4
	.byte	0                               ; EOM(1)
	.byte	0                               ; EOM(2)
	.byte	4                               ; Abbreviation Code
	.byte	29                              ; DW_TAG_inlined_subroutine
	.byte	0                               ; DW_CHILDREN_no
	.byte	49                              ; DW_AT_abstract_origin
	.byte	19                              ; DW_FORM_ref4
	.byte	17                              ; DW_AT_low_pc
	.byte	1                               ; DW_FORM_addr
	.byte	18                              ; DW_AT_high_pc
	.byte	6                               ; DW_FORM_data4
	.byte	88                              ; DW_AT_call_file
	.byte	11                              ; DW_FORM_data1
	.byte	89                              ; DW_AT_call_line
	.byte	11                              ; DW_FORM_data1
	.byte	87                              ; DW_AT_call_column
	.byte	11                              ; DW_FORM_data1
	.byte	0                               ; EOM(1)
	.byte	0                               ; EOM(2)
	.byte	5                               ; Abbreviation Code
	.byte	29                              ; DW_TAG_inlined_subroutine
	.byte	0                               ; DW_CHILDREN_no
	.byte	49                              ; DW_AT_abstract_origin
	.byte	19                              ; DW_FORM_ref4
	.byte	85                              ; DW_AT_ranges
	.byte	23                              ; DW_FORM_sec_offset
	.byte	88                              ; DW_AT_call_file
	.byte	11                              ; DW_FORM_data1
	.byte	89                              ; DW_AT_call_line
	.byte	11                              ; DW_FORM_data1
	.byte	87                              ; DW_AT_call_column
	.byte	11                              ; DW_FORM_data1
	.byte	0                               ; EOM(1)
	.byte	0                               ; EOM(2)
	.byte	0                               ; EOM(3)
	.section	.debug_info,"",@progbits
.Lcu_begin0:
	.long	.Ldebug_info_end0-.Ldebug_info_start0 ; Length of Unit
.Ldebug_info_start0:
	.short	4                               ; DWARF version number
	.long	.debug_abbrev                   ; Offset Into Abbrev. Section
	.byte	8                               ; Address Size (in bytes)
	.byte	1                               ; Abbrev [1] 0xb:0x64 DW_TAG_compile_unit
	.long	.Linfo_string0                  ; DW_AT_producer
	.short	2                               ; DW_AT_language
	.long	.Linfo_string1                  ; DW_AT_name
	.long	.Lline_table_start0             ; DW_AT_stmt_list
	.long	.Linfo_string2                  ; DW_AT_comp_dir
	.quad	.Lfunc_begin0                   ; DW_AT_low_pc
	.long	.Lfunc_end0-.Lfunc_begin0       ; DW_AT_high_pc
	.byte	2                               ; Abbrev [2] 0x2a:0x6 DW_TAG_subprogram
	.long	.Linfo_string3                  ; DW_AT_name
	.byte	1                               ; DW_AT_inline
	.byte	3                               ; Abbrev [3] 0x30:0x3e DW_TAG_subprogram
	.quad	.Lfunc_begin0                   ; DW_AT_low_pc
	.long	.Lfunc_end0-.Lfunc_begin0       ; DW_AT_high_pc
	.long	42                              ; DW_AT_abstract_origin
	.byte	4                               ; Abbrev [4] 0x41:0x14 DW_TAG_inlined_subroutine
	.long	42                              ; DW_AT_abstract_origin
	.quad	.Ltmp1                          ; DW_AT_low_pc
	.long	.Ltmp2-.Ltmp1                   ; DW_AT_high_pc
	.byte	1                               ; DW_AT_call_file
	.byte	14                              ; DW_AT_call_line
	.byte	27                              ; DW_AT_call_column
	.byte	5                               ; Abbrev [5] 0x55:0xc DW_TAG_inlined_subroutine
	.long	42                              ; DW_AT_abstract_origin
	.long	.Ldebug_ranges0                 ; DW_AT_ranges
	.byte	1                               ; DW_AT_call_file
	.byte	13                              ; DW_AT_call_line
	.byte	27                              ; DW_AT_call_column
	.byte	5                               ; Abbrev [5] 0x61:0xc DW_TAG_inlined_subroutine
	.long	42                              ; DW_AT_abstract_origin
	.long	.Ldebug_ranges1                 ; DW_AT_ranges
	.byte	1                               ; DW_AT_call_file
	.byte	29                              ; DW_AT_call_line
	.byte	33                              ; DW_AT_call_column
	.byte	0                               ; End Of Children Mark
	.byte	0                               ; End Of Children Mark
.Ldebug_info_end0:
	.section	.debug_ranges,"",@progbits
.Ldebug_ranges0:
	.quad	.Ltmp3-.Lfunc_begin0
	.quad	.Ltmp4-.Lfunc_begin0
	;; [unrolled: 1-line block ×8, first 2 shown]
	.quad	0
	.quad	0
.Ldebug_ranges1:
	.quad	.Ltmp11-.Lfunc_begin0
	.quad	.Ltmp12-.Lfunc_begin0
	.quad	.Ltmp13-.Lfunc_begin0
	.quad	.Ltmp14-.Lfunc_begin0
	.quad	0
	.quad	0
	.section	.debug_str,"MS",@progbits,1
.Linfo_string0:
	.asciz	"triton"                        ; string offset=0
.Linfo_string1:
	.asciz	"matmul.py"                     ; string offset=7
.Linfo_string2:
	.asciz	"/root/src/amdgpu-assembly/repos/triton-lang__triton-aot" ; string offset=17
.Linfo_string3:
	.asciz	"matmul_kernel"                 ; string offset=73
	.section	".note.GNU-stack","",@progbits
	.amdgpu_metadata
---
amdhsa.kernels:
  - .agpr_count:     0
    .args:
      - .address_space:  global
        .offset:         0
        .size:           8
        .value_kind:     global_buffer
      - .address_space:  global
        .offset:         8
        .size:           8
        .value_kind:     global_buffer
      - .address_space:  global
        .offset:         16
        .size:           8
        .value_kind:     global_buffer
      - .offset:         24
        .size:           4
        .value_kind:     by_value
      - .offset:         28
        .size:           4
        .value_kind:     by_value
      - .offset:         32
        .size:           4
        .value_kind:     by_value
      - .offset:         36
        .size:           4
        .value_kind:     by_value
      - .offset:         40
        .size:           4
        .value_kind:     by_value
      - .offset:         44
        .size:           4
        .value_kind:     by_value
      - .offset:         48
        .size:           4
        .value_kind:     by_value
      - .offset:         52
        .size:           4
        .value_kind:     by_value
      - .offset:         56
        .size:           4
        .value_kind:     by_value
      - .address_space:  global
        .offset:         64
        .size:           8
        .value_kind:     global_buffer
      - .address_space:  global
        .offset:         72
        .size:           8
        .value_kind:     global_buffer
    .group_segment_fixed_size: 0
    .kernarg_segment_align: 8
    .kernarg_segment_size: 80
    .max_flat_workgroup_size: 256
    .name:           matmul_kernel
    .private_segment_fixed_size: 0
    .sgpr_count:     48
    .sgpr_spill_count: 0
    .symbol:         matmul_kernel.kd
    .uniform_work_group_size: 1
    .uses_dynamic_stack: false
    .vgpr_count:     144
    .vgpr_spill_count: 0
    .wavefront_size: 64
amdhsa.target:   amdgcn-amd-amdhsa--gfx950
amdhsa.version:
  - 1
  - 2
...

	.end_amdgpu_metadata
	.section	.debug_line,"",@progbits
.Lline_table_start0:
